;; amdgpu-corpus repo=ROCm/rocFFT kind=compiled arch=gfx906 opt=O3
	.text
	.amdgcn_target "amdgcn-amd-amdhsa--gfx906"
	.amdhsa_code_object_version 6
	.protected	bluestein_single_back_len6144_dim1_half_op_CI_CI ; -- Begin function bluestein_single_back_len6144_dim1_half_op_CI_CI
	.globl	bluestein_single_back_len6144_dim1_half_op_CI_CI
	.p2align	8
	.type	bluestein_single_back_len6144_dim1_half_op_CI_CI,@function
bluestein_single_back_len6144_dim1_half_op_CI_CI: ; @bluestein_single_back_len6144_dim1_half_op_CI_CI
; %bb.0:
	s_load_dwordx4 s[0:3], s[4:5], 0x28
	s_mov_b32 s7, 0
	s_waitcnt lgkmcnt(0)
	v_mov_b32_e32 v1, s0
	v_mov_b32_e32 v2, s1
	v_cmp_lt_u64_e32 vcc, s[6:7], v[1:2]
	s_and_saveexec_b64 s[0:1], vcc
	s_cbranch_execz .LBB0_25
; %bb.1:
	s_load_dwordx2 s[12:13], s[4:5], 0x0
	s_load_dwordx2 s[14:15], s[4:5], 0x38
	v_mov_b32_e32 v21, s7
	v_mov_b32_e32 v20, s6
	s_movk_i32 s0, 0x17f
	s_movk_i32 s6, 0x180
	v_cmp_lt_u32_e64 s[0:1], s0, v0
	v_cmp_gt_u32_e32 vcc, s6, v0
	v_lshlrev_b32_e32 v39, 2, v0
	s_and_saveexec_b64 s[6:7], vcc
	s_cbranch_execz .LBB0_3
; %bb.2:
	s_load_dwordx2 s[8:9], s[4:5], 0x18
	s_movk_i32 s10, 0x1000
	s_movk_i32 s11, 0x2000
	v_or_b32_e32 v28, 0x4800, v39
	s_waitcnt lgkmcnt(0)
	s_load_dwordx4 s[16:19], s[8:9], 0x0
	s_waitcnt lgkmcnt(0)
	v_mad_u64_u32 v[1:2], s[8:9], s18, v20, 0
	v_mad_u64_u32 v[3:4], s[8:9], s16, v0, 0
	;; [unrolled: 1-line block ×4, first 2 shown]
	v_mov_b32_e32 v2, v5
	v_lshlrev_b64 v[1:2], 2, v[1:2]
	v_mov_b32_e32 v4, v6
	v_mov_b32_e32 v7, s3
	v_lshlrev_b64 v[3:4], 2, v[3:4]
	v_add_co_u32_e64 v1, s[2:3], s2, v1
	v_addc_co_u32_e64 v2, s[2:3], v7, v2, s[2:3]
	v_add_co_u32_e64 v1, s[2:3], v1, v3
	v_addc_co_u32_e64 v2, s[2:3], v2, v4, s[2:3]
	s_mul_i32 s2, s17, 0x600
	s_mul_hi_u32 s8, s16, 0x600
	s_add_i32 s8, s8, s2
	s_mul_i32 s9, s16, 0x600
	global_load_dword v7, v[1:2], off
	global_load_dword v8, v39, s[12:13]
	v_mov_b32_e32 v3, s8
	v_add_co_u32_e64 v1, s[2:3], s9, v1
	v_addc_co_u32_e64 v2, s[2:3], v2, v3, s[2:3]
	global_load_dword v9, v[1:2], off
	global_load_dword v10, v39, s[12:13] offset:1536
	v_add_co_u32_e64 v1, s[2:3], s9, v1
	v_addc_co_u32_e64 v2, s[2:3], v2, v3, s[2:3]
	global_load_dword v11, v[1:2], off
	global_load_dword v12, v39, s[12:13] offset:3072
	v_mov_b32_e32 v3, s13
	v_add_co_u32_e64 v13, s[2:3], s12, v39
	v_addc_co_u32_e64 v14, s[2:3], 0, v3, s[2:3]
	v_or_b32_e32 v4, 0x1800, v39
	v_add_co_u32_e64 v3, s[2:3], s10, v13
	global_load_dword v15, v4, s[12:13]
	v_addc_co_u32_e64 v4, s[2:3], 0, v14, s[2:3]
	v_add_co_u32_e64 v5, s[2:3], s11, v13
	v_addc_co_u32_e64 v6, s[2:3], 0, v14, s[2:3]
	global_load_dword v16, v[3:4], off offset:512
	global_load_dword v17, v[3:4], off offset:3584
	v_mov_b32_e32 v3, s8
	v_add_co_u32_e64 v1, s[2:3], s9, v1
	v_addc_co_u32_e64 v2, s[2:3], v2, v3, s[2:3]
	global_load_dword v22, v[1:2], off
	v_mov_b32_e32 v4, s8
	v_add_co_u32_e64 v1, s[2:3], s9, v1
	v_addc_co_u32_e64 v2, s[2:3], v2, v4, s[2:3]
	global_load_dword v23, v[1:2], off
	v_mov_b32_e32 v18, s8
	v_add_co_u32_e64 v1, s[2:3], s9, v1
	v_addc_co_u32_e64 v2, s[2:3], v2, v18, s[2:3]
	global_load_dword v18, v[1:2], off
	v_mov_b32_e32 v19, s8
	v_add_co_u32_e64 v1, s[2:3], s9, v1
	v_addc_co_u32_e64 v2, s[2:3], v2, v19, s[2:3]
	v_mov_b32_e32 v21, s8
	global_load_dword v19, v[1:2], off
	v_add_co_u32_e64 v1, s[2:3], s9, v1
	v_addc_co_u32_e64 v2, s[2:3], v2, v21, s[2:3]
	s_movk_i32 s10, 0x3000
	v_mov_b32_e32 v27, s8
	v_mov_b32_e32 v29, s8
	s_waitcnt vmcnt(12)
	v_lshrrev_b32_e32 v3, 16, v7
	s_waitcnt vmcnt(11)
	v_mul_f16_sdwa v4, v8, v7 dst_sel:DWORD dst_unused:UNUSED_PAD src0_sel:WORD_1 src1_sel:DWORD
	v_mul_f16_sdwa v24, v8, v3 dst_sel:DWORD dst_unused:UNUSED_PAD src0_sel:WORD_1 src1_sel:DWORD
	v_fma_f16 v3, v8, v3, -v4
	v_fma_f16 v7, v8, v7, v24
	v_pack_b32_f16 v3, v7, v3
	s_waitcnt vmcnt(10)
	v_lshrrev_b32_e32 v4, 16, v9
	s_waitcnt vmcnt(9)
	v_mul_f16_sdwa v25, v10, v9 dst_sel:DWORD dst_unused:UNUSED_PAD src0_sel:WORD_1 src1_sel:DWORD
	v_mul_f16_sdwa v8, v10, v4 dst_sel:DWORD dst_unused:UNUSED_PAD src0_sel:WORD_1 src1_sel:DWORD
	v_fma_f16 v4, v10, v4, -v25
	v_fma_f16 v7, v10, v9, v8
	s_waitcnt vmcnt(8)
	v_lshrrev_b32_e32 v24, 16, v11
	s_waitcnt vmcnt(7)
	v_mul_f16_sdwa v25, v12, v11 dst_sel:DWORD dst_unused:UNUSED_PAD src0_sel:WORD_1 src1_sel:DWORD
	v_mul_f16_sdwa v8, v12, v24 dst_sel:DWORD dst_unused:UNUSED_PAD src0_sel:WORD_1 src1_sel:DWORD
	v_pack_b32_f16 v4, v7, v4
	v_fma_f16 v9, v12, v24, -v25
	v_fma_f16 v7, v12, v11, v8
	ds_write2st64_b32 v39, v3, v4 offset1:6
	v_pack_b32_f16 v7, v7, v9
	global_load_dword v8, v[1:2], off
	global_load_dword v9, v[5:6], off offset:1024
	global_load_dword v10, v[5:6], off offset:2560
	v_mov_b32_e32 v3, s8
	v_add_co_u32_e64 v1, s[2:3], s9, v1
	v_addc_co_u32_e64 v2, s[2:3], v2, v3, s[2:3]
	v_or_b32_e32 v3, 0x3000, v39
	global_load_dword v5, v[1:2], off
	global_load_dword v6, v3, s[12:13]
	v_mov_b32_e32 v3, s8
	v_add_co_u32_e64 v1, s[2:3], s9, v1
	v_addc_co_u32_e64 v2, s[2:3], v2, v3, s[2:3]
	v_add_co_u32_e64 v3, s[2:3], s10, v13
	v_addc_co_u32_e64 v4, s[2:3], 0, v14, s[2:3]
	global_load_dword v11, v[1:2], off
	v_mov_b32_e32 v12, s8
	v_add_co_u32_e64 v1, s[2:3], s9, v1
	v_addc_co_u32_e64 v2, s[2:3], v2, v12, s[2:3]
	global_load_dword v12, v[1:2], off
	global_load_dword v21, v[3:4], off offset:1536
	global_load_dword v24, v[3:4], off offset:3072
	v_mov_b32_e32 v3, s8
	v_add_co_u32_e64 v1, s[2:3], s9, v1
	v_addc_co_u32_e64 v2, s[2:3], v2, v3, s[2:3]
	s_movk_i32 s2, 0x4000
	v_add_co_u32_e64 v3, s[2:3], s2, v13
	global_load_dword v25, v[1:2], off
	v_addc_co_u32_e64 v4, s[2:3], 0, v14, s[2:3]
	global_load_dword v26, v[3:4], off offset:512
	v_add_co_u32_e64 v1, s[2:3], s9, v1
	v_addc_co_u32_e64 v2, s[2:3], v2, v27, s[2:3]
	global_load_dword v27, v[1:2], off
	v_add_co_u32_e64 v1, s[2:3], s9, v1
	global_load_dword v28, v28, s[12:13]
	v_addc_co_u32_e64 v2, s[2:3], v2, v29, s[2:3]
	global_load_dword v29, v[1:2], off
	global_load_dword v30, v[3:4], off offset:3584
	v_mov_b32_e32 v3, s8
	v_add_co_u32_e64 v1, s[2:3], s9, v1
	v_addc_co_u32_e64 v2, s[2:3], v2, v3, s[2:3]
	s_movk_i32 s2, 0x5000
	v_add_co_u32_e64 v3, s[2:3], s2, v13
	global_load_dword v31, v[1:2], off
	v_addc_co_u32_e64 v4, s[2:3], 0, v14, s[2:3]
	global_load_dword v13, v[3:4], off offset:1024
	v_mov_b32_e32 v14, s8
	v_add_co_u32_e64 v1, s[2:3], s9, v1
	v_addc_co_u32_e64 v2, s[2:3], v2, v14, s[2:3]
	global_load_dword v14, v[1:2], off
	global_load_dword v32, v[3:4], off offset:2560
	s_waitcnt vmcnt(22)
	v_lshrrev_b32_e32 v1, 16, v22
	v_mul_f16_sdwa v2, v16, v1 dst_sel:DWORD dst_unused:UNUSED_PAD src0_sel:WORD_1 src1_sel:DWORD
	v_mul_f16_sdwa v3, v16, v22 dst_sel:DWORD dst_unused:UNUSED_PAD src0_sel:WORD_1 src1_sel:DWORD
	v_fma_f16 v2, v16, v22, v2
	v_fma_f16 v1, v16, v1, -v3
	v_pack_b32_f16 v1, v2, v1
	ds_write2st64_b32 v39, v7, v1 offset0:12 offset1:18
	s_waitcnt vmcnt(21)
	v_lshrrev_b32_e32 v1, 16, v23
	v_mul_f16_sdwa v2, v15, v1 dst_sel:DWORD dst_unused:UNUSED_PAD src0_sel:WORD_1 src1_sel:DWORD
	v_mul_f16_sdwa v3, v15, v23 dst_sel:DWORD dst_unused:UNUSED_PAD src0_sel:WORD_1 src1_sel:DWORD
	v_fma_f16 v2, v15, v23, v2
	v_fma_f16 v1, v15, v1, -v3
	v_pack_b32_f16 v1, v2, v1
	s_waitcnt vmcnt(20)
	v_lshrrev_b32_e32 v2, 16, v18
	v_mul_f16_sdwa v3, v17, v2 dst_sel:DWORD dst_unused:UNUSED_PAD src0_sel:WORD_1 src1_sel:DWORD
	v_mul_f16_sdwa v4, v17, v18 dst_sel:DWORD dst_unused:UNUSED_PAD src0_sel:WORD_1 src1_sel:DWORD
	v_fma_f16 v3, v17, v18, v3
	v_fma_f16 v2, v17, v2, -v4
	v_pack_b32_f16 v2, v3, v2
	ds_write2st64_b32 v39, v1, v2 offset0:24 offset1:30
	s_waitcnt vmcnt(19)
	v_lshrrev_b32_e32 v1, 16, v19
	s_waitcnt vmcnt(17)
	v_mul_f16_sdwa v2, v9, v1 dst_sel:DWORD dst_unused:UNUSED_PAD src0_sel:WORD_1 src1_sel:DWORD
	v_mul_f16_sdwa v3, v9, v19 dst_sel:DWORD dst_unused:UNUSED_PAD src0_sel:WORD_1 src1_sel:DWORD
	v_fma_f16 v2, v9, v19, v2
	v_fma_f16 v1, v9, v1, -v3
	v_pack_b32_f16 v1, v2, v1
	v_lshrrev_b32_e32 v2, 16, v8
	s_waitcnt vmcnt(16)
	v_mul_f16_sdwa v3, v10, v2 dst_sel:DWORD dst_unused:UNUSED_PAD src0_sel:WORD_1 src1_sel:DWORD
	v_mul_f16_sdwa v4, v10, v8 dst_sel:DWORD dst_unused:UNUSED_PAD src0_sel:WORD_1 src1_sel:DWORD
	v_fma_f16 v3, v10, v8, v3
	v_fma_f16 v2, v10, v2, -v4
	v_pack_b32_f16 v2, v3, v2
	ds_write2st64_b32 v39, v1, v2 offset0:36 offset1:42
	s_waitcnt vmcnt(15)
	v_lshrrev_b32_e32 v1, 16, v5
	s_waitcnt vmcnt(14)
	v_mul_f16_sdwa v2, v6, v1 dst_sel:DWORD dst_unused:UNUSED_PAD src0_sel:WORD_1 src1_sel:DWORD
	v_mul_f16_sdwa v3, v6, v5 dst_sel:DWORD dst_unused:UNUSED_PAD src0_sel:WORD_1 src1_sel:DWORD
	v_fma_f16 v2, v6, v5, v2
	v_fma_f16 v1, v6, v1, -v3
	v_pack_b32_f16 v1, v2, v1
	s_waitcnt vmcnt(13)
	v_lshrrev_b32_e32 v2, 16, v11
	s_waitcnt vmcnt(11)
	v_mul_f16_sdwa v3, v21, v2 dst_sel:DWORD dst_unused:UNUSED_PAD src0_sel:WORD_1 src1_sel:DWORD
	v_mul_f16_sdwa v4, v21, v11 dst_sel:DWORD dst_unused:UNUSED_PAD src0_sel:WORD_1 src1_sel:DWORD
	v_fma_f16 v3, v21, v11, v3
	v_fma_f16 v2, v21, v2, -v4
	v_pack_b32_f16 v2, v3, v2
	ds_write2st64_b32 v39, v1, v2 offset0:48 offset1:54
	v_lshrrev_b32_e32 v1, 16, v12
	s_waitcnt vmcnt(10)
	v_mul_f16_sdwa v2, v24, v1 dst_sel:DWORD dst_unused:UNUSED_PAD src0_sel:WORD_1 src1_sel:DWORD
	v_mul_f16_sdwa v3, v24, v12 dst_sel:DWORD dst_unused:UNUSED_PAD src0_sel:WORD_1 src1_sel:DWORD
	v_fma_f16 v2, v24, v12, v2
	v_fma_f16 v1, v24, v1, -v3
	v_pack_b32_f16 v1, v2, v1
	s_waitcnt vmcnt(9)
	v_lshrrev_b32_e32 v2, 16, v25
	s_waitcnt vmcnt(8)
	v_mul_f16_sdwa v3, v26, v2 dst_sel:DWORD dst_unused:UNUSED_PAD src0_sel:WORD_1 src1_sel:DWORD
	v_mul_f16_sdwa v4, v26, v25 dst_sel:DWORD dst_unused:UNUSED_PAD src0_sel:WORD_1 src1_sel:DWORD
	v_fma_f16 v3, v26, v25, v3
	v_fma_f16 v2, v26, v2, -v4
	v_pack_b32_f16 v2, v3, v2
	ds_write2st64_b32 v39, v1, v2 offset0:60 offset1:66
	s_waitcnt vmcnt(7)
	v_lshrrev_b32_e32 v1, 16, v27
	s_waitcnt vmcnt(6)
	v_mul_f16_sdwa v2, v28, v1 dst_sel:DWORD dst_unused:UNUSED_PAD src0_sel:WORD_1 src1_sel:DWORD
	v_mul_f16_sdwa v3, v28, v27 dst_sel:DWORD dst_unused:UNUSED_PAD src0_sel:WORD_1 src1_sel:DWORD
	v_fma_f16 v2, v28, v27, v2
	v_fma_f16 v1, v28, v1, -v3
	v_pack_b32_f16 v1, v2, v1
	s_waitcnt vmcnt(5)
	v_lshrrev_b32_e32 v2, 16, v29
	s_waitcnt vmcnt(4)
	v_mul_f16_sdwa v3, v30, v2 dst_sel:DWORD dst_unused:UNUSED_PAD src0_sel:WORD_1 src1_sel:DWORD
	v_mul_f16_sdwa v4, v30, v29 dst_sel:DWORD dst_unused:UNUSED_PAD src0_sel:WORD_1 src1_sel:DWORD
	v_fma_f16 v3, v30, v29, v3
	v_fma_f16 v2, v30, v2, -v4
	v_pack_b32_f16 v2, v3, v2
	ds_write2st64_b32 v39, v1, v2 offset0:72 offset1:78
	s_waitcnt vmcnt(3)
	v_lshrrev_b32_e32 v1, 16, v31
	s_waitcnt vmcnt(2)
	v_mul_f16_sdwa v2, v13, v1 dst_sel:DWORD dst_unused:UNUSED_PAD src0_sel:WORD_1 src1_sel:DWORD
	v_mul_f16_sdwa v3, v13, v31 dst_sel:DWORD dst_unused:UNUSED_PAD src0_sel:WORD_1 src1_sel:DWORD
	v_fma_f16 v2, v13, v31, v2
	v_fma_f16 v1, v13, v1, -v3
	v_pack_b32_f16 v1, v2, v1
	s_waitcnt vmcnt(1)
	v_lshrrev_b32_e32 v2, 16, v14
	s_waitcnt vmcnt(0)
	v_mul_f16_sdwa v3, v32, v2 dst_sel:DWORD dst_unused:UNUSED_PAD src0_sel:WORD_1 src1_sel:DWORD
	v_mul_f16_sdwa v4, v32, v14 dst_sel:DWORD dst_unused:UNUSED_PAD src0_sel:WORD_1 src1_sel:DWORD
	v_fma_f16 v3, v32, v14, v3
	v_fma_f16 v2, v32, v2, -v4
	v_pack_b32_f16 v2, v3, v2
	ds_write2st64_b32 v39, v1, v2 offset0:84 offset1:90
.LBB0_3:
	s_or_b64 exec, exec, s[6:7]
	s_waitcnt lgkmcnt(0)
	s_barrier
	s_waitcnt lgkmcnt(0)
                                        ; implicit-def: $vgpr1
                                        ; implicit-def: $vgpr6
                                        ; implicit-def: $vgpr7
                                        ; implicit-def: $vgpr3
                                        ; implicit-def: $vgpr12
                                        ; implicit-def: $vgpr10
                                        ; implicit-def: $vgpr13
                                        ; implicit-def: $vgpr16
	s_and_saveexec_b64 s[2:3], vcc
	s_cbranch_execz .LBB0_5
; %bb.4:
	ds_read2st64_b32 v[1:2], v39 offset1:6
	ds_read2st64_b32 v[3:4], v39 offset0:12 offset1:18
	ds_read2st64_b32 v[7:8], v39 offset0:24 offset1:72
	;; [unrolled: 1-line block ×7, first 2 shown]
.LBB0_5:
	s_or_b64 exec, exec, s[2:3]
	s_waitcnt lgkmcnt(3)
	v_pk_add_f16 v19, v1, v6 neg_lo:[0,1] neg_hi:[0,1]
	v_pk_add_f16 v24, v7, v8 neg_lo:[0,1] neg_hi:[0,1]
	s_waitcnt lgkmcnt(2)
	v_pk_add_f16 v26, v3, v12 neg_lo:[0,1] neg_hi:[0,1]
	s_waitcnt lgkmcnt(0)
	v_pk_add_f16 v13, v10, v13 neg_lo:[0,1] neg_hi:[0,1]
	v_pk_add_f16 v27, v2, v11 neg_lo:[0,1] neg_hi:[0,1]
	;; [unrolled: 1-line block ×5, first 2 shown]
	v_sub_f16_sdwa v16, v19, v24 dst_sel:DWORD dst_unused:UNUSED_PAD src0_sel:DWORD src1_sel:WORD_1
	v_lshrrev_b32_e32 v6, 16, v19
	v_sub_f16_sdwa v23, v26, v13 dst_sel:DWORD dst_unused:UNUSED_PAD src0_sel:DWORD src1_sel:WORD_1
	v_lshrrev_b32_e32 v11, 16, v26
	s_load_dwordx2 s[6:7], s[4:5], 0x20
	s_load_dwordx2 s[2:3], s[4:5], 0x8
	v_add_f16_e32 v15, v24, v6
	v_fma_f16 v8, v19, 2.0, -v16
	v_add_f16_e32 v25, v13, v11
	v_fma_f16 v17, v26, 2.0, -v23
	v_lshrrev_b32_e32 v12, 16, v27
	v_lshrrev_b32_e32 v31, 16, v29
	s_mov_b32 s4, 0xb9a8
	v_pk_fma_f16 v1, v1, 2.0, v19 op_sel_hi:[1,0,1] neg_lo:[0,0,1] neg_hi:[0,0,1]
	v_pk_fma_f16 v7, v7, 2.0, v24 op_sel_hi:[1,0,1] neg_lo:[0,0,1] neg_hi:[0,0,1]
	;; [unrolled: 1-line block ×8, first 2 shown]
	v_fma_f16 v6, v6, 2.0, -v15
	v_fma_f16 v18, v11, 2.0, -v25
	v_sub_f16_sdwa v21, v27, v28 dst_sel:DWORD dst_unused:UNUSED_PAD src0_sel:DWORD src1_sel:WORD_1
	v_add_f16_e32 v22, v28, v12
	v_sub_f16_sdwa v30, v29, v14 dst_sel:DWORD dst_unused:UNUSED_PAD src0_sel:DWORD src1_sel:WORD_1
	v_add_f16_e32 v32, v14, v31
	v_fma_f16 v34, v17, s4, v8
	s_movk_i32 s5, 0x39a8
	v_pk_add_f16 v24, v1, v7 neg_lo:[0,1] neg_hi:[0,1]
	v_pk_add_f16 v7, v3, v10 neg_lo:[0,1] neg_hi:[0,1]
	;; [unrolled: 1-line block ×4, first 2 shown]
	v_fma_f16 v11, v27, 2.0, -v21
	v_fma_f16 v12, v12, 2.0, -v22
	;; [unrolled: 1-line block ×4, first 2 shown]
	v_fma_f16 v35, v18, s4, v6
	v_fma_f16 v18, v18, s4, v34
	;; [unrolled: 1-line block ×3, first 2 shown]
	v_pk_fma_f16 v2, v1, 2.0, v24 op_sel_hi:[1,0,1] neg_lo:[0,0,1] neg_hi:[0,0,1]
	v_pk_fma_f16 v1, v3, 2.0, v7 op_sel_hi:[1,0,1] neg_lo:[0,0,1] neg_hi:[0,0,1]
	;; [unrolled: 1-line block ×4, first 2 shown]
	v_fma_f16 v17, v17, s5, v35
	v_fma_f16 v35, v25, s5, v15
	;; [unrolled: 1-line block ×3, first 2 shown]
	v_pk_add_f16 v1, v2, v1 neg_lo:[0,1] neg_hi:[0,1]
	v_sub_f16_sdwa v34, v24, v7 dst_sel:DWORD dst_unused:UNUSED_PAD src0_sel:DWORD src1_sel:WORD_1
	v_add_f16_sdwa v27, v7, v24 dst_sel:DWORD dst_unused:UNUSED_PAD src0_sel:DWORD src1_sel:WORD_1
	v_pk_add_f16 v7, v4, v3 neg_lo:[0,1] neg_hi:[0,1]
	v_fma_f16 v3, v33, s4, v11
	v_fma_f16 v10, v31, s4, v12
	;; [unrolled: 1-line block ×7, first 2 shown]
	v_sub_f16_sdwa v10, v26, v9 dst_sel:DWORD dst_unused:UNUSED_PAD src0_sel:DWORD src1_sel:WORD_1
	v_add_f16_sdwa v9, v9, v26 dst_sel:DWORD dst_unused:UNUSED_PAD src0_sel:DWORD src1_sel:WORD_1
	v_fma_f16 v36, v32, s4, v13
	v_fma_f16 v35, v30, s5, v14
	v_pk_add_f16 v41, v1, v7 op_sel:[0,1] op_sel_hi:[1,0]
	s_movk_i32 s8, 0x361f
	s_movk_i32 s10, 0x3b64
	v_lshrrev_b32_e32 v28, 16, v24
	v_lshrrev_b32_e32 v37, 16, v26
	v_pk_add_f16 v19, v1, v7 op_sel:[0,1] op_sel_hi:[1,0] neg_lo:[0,1] neg_hi:[0,1]
	v_fma_f16 v13, v5, s8, v18
	v_fma_f16 v14, v3, s8, v17
	s_mov_b32 s9, 0xbb64
	v_fma_f16 v30, v10, s5, v34
	v_fma_f16 v31, v9, s5, v27
	v_fma_f16 v38, v36, s10, v25
	v_fma_f16 v40, v35, s10, v23
	s_mov_b32 s11, 0xb61f
	v_lshrrev_b32_e32 v29, 16, v41
	s_waitcnt lgkmcnt(0)
	s_barrier
	s_and_saveexec_b64 s[16:17], s[0:1]
	s_xor_b64 s[0:1], exec, s[16:17]
; %bb.6:
                                        ; implicit-def: $vgpr16
                                        ; implicit-def: $vgpr15
                                        ; implicit-def: $vgpr8
                                        ; implicit-def: $vgpr6
                                        ; implicit-def: $vgpr21
                                        ; implicit-def: $vgpr22
                                        ; implicit-def: $vgpr11
                                        ; implicit-def: $vgpr12
                                        ; implicit-def: $vgpr18
                                        ; implicit-def: $vgpr17
                                        ; implicit-def: $vgpr25
                                        ; implicit-def: $vgpr23
                                        ; implicit-def: $vgpr24
                                        ; implicit-def: $vgpr2
                                        ; implicit-def: $vgpr26
                                        ; implicit-def: $vgpr4
                                        ; implicit-def: $vgpr1
                                        ; implicit-def: $vgpr34
                                        ; implicit-def: $vgpr27
                                        ; implicit-def: $vgpr7
                                        ; implicit-def: $vgpr41
                                        ; implicit-def: $vgpr28
                                        ; implicit-def: $vgpr37
; %bb.7:
	s_or_saveexec_b64 s[0:1], s[0:1]
	v_fma_f16 v13, v3, s9, v13
	v_fma_f16 v32, v5, s10, v14
	v_fma_f16 v14, v9, s4, v30
	v_fma_f16 v33, v10, s5, v31
	v_fma_f16 v31, v35, s11, v38
	v_fma_f16 v30, v36, s8, v40
	v_lshlrev_b32_e32 v47, 6, v0
	s_xor_b64 exec, exec, s[0:1]
	s_cbranch_execz .LBB0_9
; %bb.8:
	s_mov_b32 s4, 0xffff
	v_bfi_b32 v40, s4, v19, v41
	v_fma_f16 v16, v16, 2.0, -v25
	v_fma_f16 v21, v21, 2.0, -v36
	s_mov_b32 s4, 0xb61f
	v_fma_f16 v38, v25, 2.0, -v31
	v_fma_f16 v25, v21, s4, v16
	v_fma_f16 v22, v22, 2.0, -v35
	s_mov_b32 s5, 0xbb64
	v_fma_f16 v15, v15, 2.0, -v23
	v_fma_f16 v25, v22, s5, v25
	v_fma_f16 v22, v22, s4, v15
	s_movk_i32 s8, 0x3b64
	v_fma_f16 v21, v21, s8, v22
	v_fma_f16 v22, v24, 2.0, -v34
	v_fma_f16 v10, v26, 2.0, -v10
	s_mov_b32 s8, 0xb9a8
	v_fma_f16 v8, v8, 2.0, -v18
	v_fma_f16 v5, v11, 2.0, -v5
	;; [unrolled: 1-line block ×3, first 2 shown]
	v_fma_f16 v23, v10, s8, v22
	v_fma_f16 v9, v37, 2.0, -v9
	v_fma_f16 v24, v28, 2.0, -v27
	v_fma_f16 v11, v5, s5, v8
	v_fma_f16 v3, v12, 2.0, -v3
	v_fma_f16 v6, v6, 2.0, -v17
	v_fma_f16 v23, v9, s8, v23
	v_fma_f16 v9, v9, s8, v24
	s_movk_i32 s8, 0x39a8
	v_fma_f16 v11, v3, s4, v11
	v_fma_f16 v3, v3, s5, v6
	s_movk_i32 s4, 0x361f
	v_fma_f16 v9, v10, s8, v9
	v_fma_f16 v12, v5, s4, v3
	v_pk_fma_f16 v3, v2, 2.0, v1 op_sel_hi:[1,0,1] neg_lo:[0,0,1] neg_hi:[0,0,1]
	v_pk_fma_f16 v2, v4, 2.0, v7 op_sel_hi:[1,0,1] neg_lo:[0,0,1] neg_hi:[0,0,1]
	v_fma_f16 v16, v16, 2.0, -v25
	v_fma_f16 v15, v15, 2.0, -v21
	v_fma_f16 v22, v22, 2.0, -v23
	v_fma_f16 v10, v24, 2.0, -v9
	v_fma_f16 v8, v8, 2.0, -v11
	v_fma_f16 v5, v6, 2.0, -v12
	v_pk_add_f16 v2, v3, v2 neg_lo:[0,1] neg_hi:[0,1]
	v_fma_f16 v42, v34, 2.0, -v14
	v_fma_f16 v43, v27, 2.0, -v33
	;; [unrolled: 1-line block ×4, first 2 shown]
	v_pk_fma_f16 v3, v3, 2.0, v2 op_sel_hi:[1,0,1] neg_lo:[0,0,1] neg_hi:[0,0,1]
	v_pack_b32_f16 v6, v16, v15
	v_pack_b32_f16 v4, v8, v5
	;; [unrolled: 1-line block ×3, first 2 shown]
	ds_write_b128 v47, v[3:6]
	v_pk_fma_f16 v3, v1, 2.0, v40 op_sel_hi:[1,0,1] neg_lo:[0,0,1] neg_hi:[0,0,1]
	v_pack_b32_f16 v6, v38, v41
	v_pack_b32_f16 v5, v42, v43
	;; [unrolled: 1-line block ×3, first 2 shown]
	s_mov_b32 s4, 0x5040100
	ds_write_b128 v47, v[3:6] offset:16
	v_pack_b32_f16 v5, v25, v21
	v_pack_b32_f16 v3, v11, v12
	;; [unrolled: 1-line block ×3, first 2 shown]
	v_perm_b32 v43, v30, v31, s4
	v_perm_b32 v42, v33, v14, s4
	;; [unrolled: 1-line block ×3, first 2 shown]
	ds_write_b128 v47, v[2:5] offset:32
	ds_write_b128 v47, v[40:43] offset:48
.LBB0_9:
	s_or_b64 exec, exec, s[0:1]
	v_and_b32_e32 v10, 15, v0
	v_mad_u64_u32 v[1:2], s[0:1], v10, 12, s[2:3]
	s_load_dwordx4 s[8:11], s[6:7], 0x0
	s_waitcnt lgkmcnt(0)
	s_barrier
	global_load_dwordx3 v[5:7], v[1:2], off
	ds_read2st64_b32 v[1:2], v39 offset1:8
	ds_read2st64_b32 v[3:4], v39 offset0:16 offset1:24
	ds_read2st64_b32 v[8:9], v39 offset0:32 offset1:48
	;; [unrolled: 1-line block ×4, first 2 shown]
	ds_read_b32 v21, v39 offset:20480
	ds_read_b32 v22, v39 offset:22528
	s_waitcnt lgkmcnt(6)
	v_lshrrev_b32_e32 v23, 16, v1
	s_waitcnt lgkmcnt(5)
	v_lshrrev_b32_e32 v24, 16, v4
	;; [unrolled: 2-line block ×4, first 2 shown]
	v_lshrrev_b32_e32 v28, 16, v8
	s_waitcnt lgkmcnt(2)
	v_lshrrev_b32_e32 v34, 16, v18
	s_waitcnt lgkmcnt(1)
	v_lshrrev_b32_e32 v35, 16, v21
	v_lshrrev_b32_e32 v27, 16, v2
	;; [unrolled: 1-line block ×4, first 2 shown]
	s_waitcnt lgkmcnt(0)
	v_lshrrev_b32_e32 v40, 16, v22
	v_lshrrev_b32_e32 v36, 16, v3
	s_movk_i32 s0, 0x7c0
	v_or_b32_e32 v11, 0x200, v0
	s_waitcnt vmcnt(0)
	s_barrier
	v_mov_b32_e32 v12, 0
	v_mul_f16_sdwa v41, v24, v5 dst_sel:DWORD dst_unused:UNUSED_PAD src0_sel:DWORD src1_sel:WORD_1
	v_mul_f16_sdwa v44, v9, v6 dst_sel:DWORD dst_unused:UNUSED_PAD src0_sel:DWORD src1_sel:WORD_1
	;; [unrolled: 1-line block ×12, first 2 shown]
	v_fma_f16 v4, v4, v5, -v41
	v_fma_f16 v25, v25, v6, v44
	v_fma_f16 v16, v16, v7, -v45
	v_fma_f16 v28, v28, v5, v49
	v_fma_f16 v34, v34, v6, v51
	;; [unrolled: 1-line block ×3, first 2 shown]
	v_mul_f16_sdwa v57, v15, v6 dst_sel:DWORD dst_unused:UNUSED_PAD src0_sel:DWORD src1_sel:WORD_1
	v_fma_f16 v8, v8, v5, -v48
	v_fma_f16 v21, v21, v7, -v52
	v_sub_f16_e32 v25, v23, v25
	v_sub_f16_e32 v16, v4, v16
	;; [unrolled: 1-line block ×4, first 2 shown]
	v_mul_f16_sdwa v54, v37, v5 dst_sel:DWORD dst_unused:UNUSED_PAD src0_sel:DWORD src1_sel:WORD_1
	v_mul_f16_sdwa v56, v38, v6 dst_sel:DWORD dst_unused:UNUSED_PAD src0_sel:DWORD src1_sel:WORD_1
	;; [unrolled: 1-line block ×3, first 2 shown]
	v_fma_f16 v38, v38, v6, v57
	v_sub_f16_e32 v21, v8, v21
	v_fma_f16 v4, v4, 2.0, -v16
	v_add_f16_e32 v41, v25, v16
	v_fma_f16 v16, v27, 2.0, -v34
	v_fma_f16 v27, v28, 2.0, -v35
	v_mul_f16_sdwa v55, v17, v5 dst_sel:DWORD dst_unused:UNUSED_PAD src0_sel:DWORD src1_sel:WORD_1
	v_mul_f16_sdwa v59, v22, v7 dst_sel:DWORD dst_unused:UNUSED_PAD src0_sel:DWORD src1_sel:WORD_1
	v_fma_f16 v24, v24, v5, v42
	v_fma_f16 v9, v9, v6, -v43
	v_fma_f16 v26, v26, v7, v46
	v_fma_f16 v17, v17, v5, -v54
	v_fma_f16 v15, v15, v6, -v56
	;; [unrolled: 1-line block ×3, first 2 shown]
	v_sub_f16_e32 v27, v16, v27
	v_add_f16_e32 v43, v34, v21
	v_sub_f16_e32 v38, v36, v38
	v_sub_f16_e32 v9, v1, v9
	v_sub_f16_e32 v26, v24, v26
	v_fma_f16 v28, v16, 2.0, -v27
	v_fma_f16 v44, v34, 2.0, -v43
	v_sub_f16_e32 v16, v3, v15
	v_fma_f16 v34, v36, 2.0, -v38
	v_sub_f16_e32 v36, v17, v22
	v_fma_f16 v1, v1, 2.0, -v9
	v_fma_f16 v23, v23, 2.0, -v25
	;; [unrolled: 1-line block ×5, first 2 shown]
	v_sub_f16_e32 v26, v9, v26
	v_fma_f16 v8, v8, 2.0, -v21
	v_sub_f16_e32 v4, v1, v4
	v_sub_f16_e32 v24, v23, v24
	;; [unrolled: 1-line block ×3, first 2 shown]
	v_fma_f16 v18, v18, v6, -v50
	v_fma_f16 v9, v9, 2.0, -v26
	v_fma_f16 v25, v25, 2.0, -v41
	;; [unrolled: 1-line block ×5, first 2 shown]
	v_and_or_b32 v3, v39, s0, v10
	v_sub_f16_e32 v18, v2, v18
	v_lshlrev_b32_e32 v48, 2, v3
	v_pack_b32_f16 v1, v1, v23
	v_pack_b32_f16 v3, v9, v25
	v_fma_f16 v2, v2, 2.0, -v18
	ds_write2_b32 v48, v1, v3 offset1:16
	v_pack_b32_f16 v1, v4, v24
	v_pack_b32_f16 v3, v26, v41
	v_sub_f16_e32 v8, v2, v8
	v_sub_f16_e32 v42, v18, v35
	ds_write2_b32 v48, v1, v3 offset0:32 offset1:48
	v_lshlrev_b32_e32 v1, 2, v11
	s_movk_i32 s0, 0xfc0
	v_fma_f16 v37, v37, v5, v55
	v_fma_f16 v40, v40, v7, v59
	v_fma_f16 v2, v2, 2.0, -v8
	v_fma_f16 v18, v18, 2.0, -v42
	v_and_or_b32 v1, v1, s0, v10
	v_sub_f16_e32 v22, v37, v40
	v_lshlrev_b32_e32 v49, 2, v1
	v_pack_b32_f16 v1, v2, v28
	v_pack_b32_f16 v2, v18, v44
	v_fma_f16 v17, v37, 2.0, -v22
	ds_write2_b32 v49, v1, v2 offset1:16
	v_pack_b32_f16 v1, v8, v27
	v_pack_b32_f16 v2, v42, v43
	v_sub_f16_e32 v35, v34, v17
	v_sub_f16_e32 v22, v16, v22
	v_add_f16_e32 v37, v38, v36
	ds_write2_b32 v49, v1, v2 offset0:32 offset1:48
	v_or_b32_e32 v1, 0x1000, v39
	s_movk_i32 s0, 0x17c0
	v_fma_f16 v34, v34, 2.0, -v35
	v_fma_f16 v16, v16, 2.0, -v22
	;; [unrolled: 1-line block ×3, first 2 shown]
	v_and_or_b32 v1, v1, s0, v10
	v_lshlrev_b32_e32 v50, 2, v1
	v_pack_b32_f16 v1, v15, v34
	v_pack_b32_f16 v2, v16, v36
	ds_write2_b32 v50, v1, v2 offset1:16
	v_pack_b32_f16 v1, v21, v35
	v_pack_b32_f16 v2, v22, v37
	ds_write2_b32 v50, v1, v2 offset0:32 offset1:48
	s_waitcnt lgkmcnt(0)
	s_barrier
	ds_read2st64_b32 v[17:18], v39 offset1:12
	ds_read2st64_b32 v[27:28], v39 offset0:24 offset1:36
	ds_read2st64_b32 v[25:26], v39 offset0:48 offset1:60
	;; [unrolled: 1-line block ×3, first 2 shown]
	s_mov_b64 s[0:1], 0x300
	v_cmp_gt_u64_e64 s[0:1], s[0:1], v[11:12]
	v_or_b32_e32 v42, 0x3800, v39
	s_and_saveexec_b64 s[4:5], s[0:1]
	s_cbranch_execz .LBB0_11
; %bb.10:
	ds_read2st64_b32 v[15:16], v39 offset0:8 offset1:20
	ds_read2st64_b32 v[21:22], v39 offset0:32 offset1:44
	;; [unrolled: 1-line block ×3, first 2 shown]
	ds_read_b32 v19, v42
	ds_read_b32 v31, v39 offset:23552
	s_waitcnt lgkmcnt(4)
	v_lshrrev_b32_e32 v34, 16, v15
	v_lshrrev_b32_e32 v36, 16, v16
	s_waitcnt lgkmcnt(3)
	v_lshrrev_b32_e32 v35, 16, v21
	v_lshrrev_b32_e32 v37, 16, v22
	;; [unrolled: 3-line block ×3, first 2 shown]
	v_lshrrev_b32_e32 v33, 16, v14
	s_waitcnt lgkmcnt(0)
	v_lshrrev_b32_e32 v30, 16, v31
.LBB0_11:
	s_or_b64 exec, exec, s[4:5]
	v_and_b32_e32 v46, 63, v0
	v_mad_u64_u32 v[40:41], s[4:5], v46, 28, s[2:3]
	s_waitcnt lgkmcnt(3)
	v_lshrrev_b32_e32 v38, 16, v18
	s_waitcnt lgkmcnt(1)
	v_lshrrev_b32_e32 v43, 16, v25
	global_load_dwordx4 v[1:4], v[40:41], off offset:192
	global_load_dwordx3 v[8:10], v[40:41], off offset:208
	v_lshrrev_b32_e32 v40, 16, v27
	v_lshrrev_b32_e32 v41, 16, v28
	;; [unrolled: 1-line block ×3, first 2 shown]
	s_waitcnt lgkmcnt(0)
	v_lshrrev_b32_e32 v52, 16, v23
	v_lshrrev_b32_e32 v53, 16, v24
	;; [unrolled: 1-line block ×3, first 2 shown]
	s_mov_b32 s4, 0xb9a8
	s_movk_i32 s5, 0x39a8
	s_waitcnt vmcnt(0)
	s_barrier
	v_or_b32_e32 v45, 0x2800, v39
	v_or_b32_e32 v44, 0x5800, v39
	v_mul_f16_sdwa v54, v38, v1 dst_sel:DWORD dst_unused:UNUSED_PAD src0_sel:DWORD src1_sel:WORD_1
	v_mul_f16_sdwa v56, v40, v2 dst_sel:DWORD dst_unused:UNUSED_PAD src0_sel:DWORD src1_sel:WORD_1
	;; [unrolled: 1-line block ×14, first 2 shown]
	v_fma_f16 v18, v18, v1, -v54
	v_fma_f16 v27, v27, v2, -v56
	;; [unrolled: 1-line block ×7, first 2 shown]
	v_fma_f16 v38, v38, v1, v55
	v_fma_f16 v40, v40, v2, v57
	v_fma_f16 v41, v41, v3, v59
	v_fma_f16 v43, v43, v4, v61
	v_fma_f16 v51, v51, v8, v63
	v_fma_f16 v52, v52, v9, v65
	v_fma_f16 v53, v53, v10, v67
	v_sub_f16_e32 v25, v17, v25
	v_sub_f16_e32 v23, v27, v23
	;; [unrolled: 1-line block ×8, first 2 shown]
	v_fma_f16 v17, v17, 2.0, -v25
	v_fma_f16 v27, v27, 2.0, -v23
	;; [unrolled: 1-line block ×8, first 2 shown]
	v_sub_f16_e32 v27, v17, v27
	v_sub_f16_e32 v28, v18, v28
	;; [unrolled: 1-line block ×3, first 2 shown]
	v_fma_f16 v17, v17, 2.0, -v27
	v_add_f16_e32 v23, v43, v23
	v_sub_f16_e32 v41, v38, v41
	v_fma_f16 v18, v18, 2.0, -v28
	v_add_f16_e32 v24, v51, v24
	v_fma_f16 v12, v12, 2.0, -v40
	v_sub_f16_e32 v52, v25, v52
	v_fma_f16 v43, v43, 2.0, -v23
	v_fma_f16 v38, v38, 2.0, -v41
	v_sub_f16_e32 v53, v26, v53
	v_fma_f16 v51, v51, 2.0, -v24
	v_sub_f16_e32 v57, v17, v18
	v_fma_f16 v25, v25, 2.0, -v52
	v_fma_f16 v26, v26, 2.0, -v53
	v_sub_f16_e32 v38, v12, v38
	v_fma_f16 v58, v17, 2.0, -v57
	v_fma_f16 v17, v51, s4, v43
	v_mul_f16_sdwa v70, v35, v2 dst_sel:DWORD dst_unused:UNUSED_PAD src0_sel:DWORD src1_sel:WORD_1
	v_mul_f16_sdwa v71, v21, v2 dst_sel:DWORD dst_unused:UNUSED_PAD src0_sel:DWORD src1_sel:WORD_1
	;; [unrolled: 1-line block ×5, first 2 shown]
	v_fma_f16 v59, v12, 2.0, -v38
	v_fma_f16 v12, v26, s4, v25
	v_fma_f16 v60, v26, s5, v17
	v_fma_f16 v17, v24, s5, v23
	v_mul_f16_sdwa v68, v36, v1 dst_sel:DWORD dst_unused:UNUSED_PAD src0_sel:DWORD src1_sel:WORD_1
	v_mul_f16_sdwa v74, v29, v4 dst_sel:DWORD dst_unused:UNUSED_PAD src0_sel:DWORD src1_sel:WORD_1
	;; [unrolled: 1-line block ×3, first 2 shown]
	v_fma_f16 v21, v21, v2, -v70
	v_fma_f16 v35, v35, v2, v71
	v_fma_f16 v29, v29, v4, v75
	v_fma_f16 v14, v14, v9, -v78
	v_fma_f16 v33, v33, v9, v79
	v_fma_f16 v51, v51, s4, v12
	;; [unrolled: 1-line block ×4, first 2 shown]
	v_mul_f16_sdwa v69, v16, v1 dst_sel:DWORD dst_unused:UNUSED_PAD src0_sel:DWORD src1_sel:WORD_1
	v_mul_f16_sdwa v72, v37, v3 dst_sel:DWORD dst_unused:UNUSED_PAD src0_sel:DWORD src1_sel:WORD_1
	;; [unrolled: 1-line block ×4, first 2 shown]
	v_fma_f16 v16, v16, v1, -v68
	v_fma_f16 v19, v19, v4, -v74
	;; [unrolled: 1-line block ×3, first 2 shown]
	v_fma_f16 v62, v24, s4, v12
	v_fma_f16 v65, v23, 2.0, -v63
	v_sub_f16_e32 v18, v34, v29
	v_sub_f16_e32 v23, v21, v14
	;; [unrolled: 1-line block ×3, first 2 shown]
	v_mul_f16_sdwa v73, v22, v3 dst_sel:DWORD dst_unused:UNUSED_PAD src0_sel:DWORD src1_sel:WORD_1
	v_mul_f16_sdwa v81, v31, v10 dst_sel:DWORD dst_unused:UNUSED_PAD src0_sel:DWORD src1_sel:WORD_1
	v_fma_f16 v22, v22, v3, -v72
	v_fma_f16 v31, v31, v10, -v80
	v_fma_f16 v61, v25, 2.0, -v51
	v_sub_f16_e32 v12, v15, v19
	v_fma_f16 v19, v34, 2.0, -v18
	v_fma_f16 v14, v21, 2.0, -v23
	v_fma_f16 v21, v35, 2.0, -v24
	v_sub_f16_e32 v25, v16, v13
	v_fma_f16 v36, v36, v1, v69
	v_fma_f16 v37, v37, v3, v73
	;; [unrolled: 1-line block ×4, first 2 shown]
	v_fma_f16 v17, v15, 2.0, -v12
	v_fma_f16 v29, v16, 2.0, -v25
	v_sub_f16_e32 v31, v22, v31
	v_sub_f16_e32 v16, v19, v21
	v_sub_f16_e32 v26, v36, v32
	v_sub_f16_e32 v30, v37, v30
	v_fma_f16 v22, v22, 2.0, -v31
	v_sub_f16_e32 v15, v17, v14
	v_fma_f16 v14, v19, 2.0, -v16
	v_sub_f16_e32 v19, v12, v24
	v_fma_f16 v32, v36, 2.0, -v26
	v_fma_f16 v33, v37, 2.0, -v30
	;; [unrolled: 1-line block ×4, first 2 shown]
	v_sub_f16_e32 v12, v29, v22
	v_add_f16_e32 v21, v18, v23
	v_sub_f16_e32 v22, v32, v33
	v_fma_f16 v23, v29, 2.0, -v12
	v_sub_f16_e32 v29, v25, v30
	v_add_f16_e32 v30, v26, v31
	v_fma_f16 v18, v18, 2.0, -v21
	v_fma_f16 v24, v32, 2.0, -v22
	;; [unrolled: 1-line block ×4, first 2 shown]
	v_sub_f16_e32 v55, v14, v24
	v_fma_f16 v24, v25, s4, v17
	v_fma_f16 v31, v26, s4, v18
	v_add_f16_e32 v56, v16, v12
	v_fma_f16 v12, v29, s5, v19
	v_fma_f16 v24, v26, s4, v24
	;; [unrolled: 1-line block ×3, first 2 shown]
	v_sub_f16_e32 v25, v15, v22
	v_fma_f16 v22, v30, s5, v21
	v_fma_f16 v26, v30, s4, v12
	v_lshlrev_b32_e32 v12, 3, v0
	s_movk_i32 s4, 0xe00
	v_fma_f16 v43, v43, 2.0, -v60
	v_sub_f16_e32 v41, v27, v41
	v_add_f16_e32 v28, v40, v28
	v_fma_f16 v54, v29, s5, v22
	v_and_or_b32 v22, v12, s4, v46
	v_fma_f16 v27, v27, 2.0, -v41
	v_fma_f16 v40, v40, 2.0, -v28
	;; [unrolled: 1-line block ×3, first 2 shown]
	v_lshlrev_b32_e32 v52, 2, v22
	v_pack_b32_f16 v22, v58, v59
	v_pack_b32_f16 v29, v61, v43
	ds_write2st64_b32 v52, v22, v29 offset1:1
	v_pack_b32_f16 v22, v27, v40
	v_pack_b32_f16 v27, v64, v65
	ds_write2st64_b32 v52, v22, v27 offset0:2 offset1:3
	v_pack_b32_f16 v22, v57, v38
	v_pack_b32_f16 v27, v51, v60
	v_sub_f16_e32 v23, v13, v23
	ds_write2st64_b32 v52, v22, v27 offset0:4 offset1:5
	v_pack_b32_f16 v22, v41, v28
	v_pack_b32_f16 v27, v62, v63
	v_lshlrev_b32_e32 v51, 3, v11
	ds_write2st64_b32 v52, v22, v27 offset0:6 offset1:7
	s_and_saveexec_b64 s[4:5], s[0:1]
	s_cbranch_execz .LBB0_13
; %bb.12:
	s_movk_i32 s6, 0x1e00
	v_fma_f16 v11, v19, 2.0, -v26
	v_fma_f16 v19, v21, 2.0, -v54
	;; [unrolled: 1-line block ×6, first 2 shown]
	v_and_or_b32 v21, v51, s6, v46
	v_fma_f16 v15, v15, 2.0, -v25
	v_fma_f16 v16, v16, 2.0, -v56
	v_lshlrev_b32_e32 v21, 2, v21
	v_pack_b32_f16 v13, v13, v14
	v_pack_b32_f16 v14, v17, v18
	ds_write2st64_b32 v21, v13, v14 offset1:1
	v_pack_b32_f16 v13, v15, v16
	v_pack_b32_f16 v11, v11, v19
	s_mov_b32 s6, 0x5040100
	ds_write2st64_b32 v21, v13, v11 offset0:2 offset1:3
	v_perm_b32 v11, v55, v23, s6
	v_perm_b32 v13, v53, v24, s6
	ds_write2st64_b32 v21, v11, v13 offset0:4 offset1:5
	v_perm_b32 v11, v56, v25, s6
	v_perm_b32 v13, v54, v26, s6
	ds_write2st64_b32 v21, v11, v13 offset0:6 offset1:7
.LBB0_13:
	s_or_b64 exec, exec, s[4:5]
	v_mov_b32_e32 v13, s3
	v_add_co_u32_e64 v11, s[2:3], s2, v12
	v_addc_co_u32_e64 v12, s[2:3], 0, v13, s[2:3]
	s_waitcnt lgkmcnt(0)
	s_barrier
	global_load_dwordx2 v[21:22], v[11:12], off offset:1984
	ds_read2st64_b32 v[13:14], v39 offset1:8
	ds_read2st64_b32 v[15:16], v39 offset0:32 offset1:48
	ds_read2st64_b32 v[17:18], v39 offset0:64 offset1:72
	;; [unrolled: 1-line block ×3, first 2 shown]
	ds_read_b32 v19, v39 offset:20480
	ds_read_b32 v29, v44
	ds_read_b32 v30, v45
	ds_read_b32 v31, v42
	s_waitcnt lgkmcnt(6)
	v_lshrrev_b32_e32 v33, 16, v15
	s_waitcnt lgkmcnt(5)
	v_lshrrev_b32_e32 v34, 16, v17
	v_lshrrev_b32_e32 v37, 16, v18
	s_waitcnt lgkmcnt(1)
	v_lshrrev_b32_e32 v36, 16, v30
	v_lshrrev_b32_e32 v40, 16, v16
	;; [unrolled: 1-line block ×5, first 2 shown]
	s_movk_i32 s2, 0x3aee
	s_mov_b32 s3, 0xbaee
	s_waitcnt lgkmcnt(0)
	v_lshrrev_b32_e32 v57, 16, v31
	v_lshrrev_b32_e32 v58, 16, v29
	;; [unrolled: 1-line block ×4, first 2 shown]
	s_waitcnt vmcnt(0)
	s_barrier
	s_movk_i32 s18, 0x1000
	s_movk_i32 s17, 0x2000
	;; [unrolled: 1-line block ×3, first 2 shown]
	v_mul_f16_sdwa v60, v15, v21 dst_sel:DWORD dst_unused:UNUSED_PAD src0_sel:DWORD src1_sel:WORD_1
	v_mul_f16_sdwa v62, v17, v22 dst_sel:DWORD dst_unused:UNUSED_PAD src0_sel:DWORD src1_sel:WORD_1
	;; [unrolled: 1-line block ×10, first 2 shown]
	v_fma_f16 v33, v33, v21, v60
	v_fma_f16 v34, v34, v22, v62
	v_fma_f16 v30, v30, v21, -v63
	v_fma_f16 v36, v36, v21, v64
	v_fma_f16 v37, v37, v22, v66
	v_mul_f16_sdwa v68, v16, v21 dst_sel:DWORD dst_unused:UNUSED_PAD src0_sel:DWORD src1_sel:WORD_1
	v_mul_f16_sdwa v70, v19, v22 dst_sel:DWORD dst_unused:UNUSED_PAD src0_sel:DWORD src1_sel:WORD_1
	v_fma_f16 v15, v15, v21, -v59
	v_fma_f16 v17, v17, v22, -v61
	;; [unrolled: 1-line block ×5, first 2 shown]
	v_sub_f16_e32 v61, v33, v34
	v_add_f16_e32 v62, v32, v33
	v_add_f16_e32 v33, v33, v34
	;; [unrolled: 1-line block ×3, first 2 shown]
	v_sub_f16_e32 v65, v36, v37
	v_add_f16_e32 v66, v35, v36
	v_add_f16_e32 v36, v36, v37
	v_fma_f16 v40, v40, v21, v68
	v_fma_f16 v41, v41, v22, v70
	v_add_f16_e32 v60, v15, v17
	v_add_f16_e32 v64, v30, v18
	v_fma_f16 v32, v33, -0.5, v32
	v_add_f16_e32 v33, v63, v18
	v_fma_f16 v35, v36, -0.5, v35
	v_sub_f16_e32 v18, v30, v18
	v_add_f16_e32 v36, v16, v19
	v_mul_f16_sdwa v71, v57, v21 dst_sel:DWORD dst_unused:UNUSED_PAD src0_sel:DWORD src1_sel:WORD_1
	v_mul_f16_sdwa v73, v58, v22 dst_sel:DWORD dst_unused:UNUSED_PAD src0_sel:DWORD src1_sel:WORD_1
	v_add_f16_e32 v59, v13, v15
	v_fma_f16 v13, v60, -0.5, v13
	v_fma_f16 v30, v18, s3, v35
	v_fma_f16 v18, v18, s2, v35
	v_add_f16_e32 v35, v27, v16
	v_fma_f16 v27, v36, -0.5, v27
	v_sub_f16_e32 v36, v40, v41
	v_mul_f16_sdwa v72, v31, v21 dst_sel:DWORD dst_unused:UNUSED_PAD src0_sel:DWORD src1_sel:WORD_1
	v_mul_f16_sdwa v74, v29, v22 dst_sel:DWORD dst_unused:UNUSED_PAD src0_sel:DWORD src1_sel:WORD_1
	v_fma_f16 v31, v31, v21, -v71
	v_fma_f16 v29, v29, v22, -v73
	v_sub_f16_e32 v15, v15, v17
	v_add_f16_e32 v17, v59, v17
	v_fma_f16 v59, v61, s2, v13
	v_fma_f16 v13, v61, s3, v13
	;; [unrolled: 1-line block ×4, first 2 shown]
	v_add_f16_e32 v36, v38, v40
	v_add_f16_e32 v40, v40, v41
	v_fma_f16 v57, v57, v21, v72
	v_fma_f16 v58, v58, v22, v74
	v_fma_f16 v14, v64, -0.5, v14
	v_fma_f16 v38, v40, -0.5, v38
	v_sub_f16_e32 v16, v16, v19
	v_add_f16_e32 v40, v31, v29
	v_add_f16_e32 v37, v66, v37
	v_fma_f16 v60, v15, s3, v32
	v_fma_f16 v15, v15, s2, v32
	;; [unrolled: 1-line block ×4, first 2 shown]
	v_add_f16_e32 v35, v35, v19
	v_fma_f16 v19, v16, s3, v38
	v_fma_f16 v16, v16, s2, v38
	v_add_f16_e32 v38, v28, v31
	v_fma_f16 v28, v40, -0.5, v28
	v_sub_f16_e32 v40, v57, v58
	v_add_f16_e32 v34, v62, v34
	v_add_f16_e32 v36, v36, v41
	v_fma_f16 v41, v40, s2, v28
	v_fma_f16 v28, v40, s3, v28
	v_add_f16_e32 v40, v43, v57
	v_add_f16_e32 v57, v57, v58
	v_pack_b32_f16 v13, v13, v15
	v_pack_b32_f16 v15, v33, v37
	;; [unrolled: 1-line block ×3, first 2 shown]
	v_add_f16_e32 v38, v38, v29
	v_fma_f16 v43, v57, -0.5, v43
	v_sub_f16_e32 v29, v31, v29
	v_pack_b32_f16 v17, v17, v34
	v_pack_b32_f16 v34, v59, v60
	ds_write2st64_b32 v39, v13, v15 offset0:16 offset1:24
	v_pack_b32_f16 v13, v32, v30
	ds_write_b32 v45, v14
	v_pack_b32_f16 v14, v35, v36
	v_add_f16_e32 v40, v40, v58
	v_fma_f16 v31, v29, s3, v43
	v_fma_f16 v29, v29, s2, v43
	ds_write2st64_b32 v39, v17, v34 offset1:8
	ds_write2st64_b32 v39, v13, v14 offset0:32 offset1:48
	v_pack_b32_f16 v13, v61, v19
	v_add_co_u32_e64 v17, s[2:3], v11, v39
	ds_write_b32 v42, v13
	v_pack_b32_f16 v13, v27, v16
	v_pack_b32_f16 v14, v38, v40
	v_addc_co_u32_e64 v18, s[2:3], 0, v12, s[2:3]
	ds_write2st64_b32 v39, v13, v14 offset0:64 offset1:72
	v_pack_b32_f16 v13, v41, v31
	v_add_co_u32_e64 v11, s[2:3], s18, v17
	ds_write_b32 v39, v13 offset:20480
	v_pack_b32_f16 v13, v28, v29
	v_addc_co_u32_e64 v12, s[2:3], 0, v18, s[2:3]
	ds_write_b32 v44, v13
	s_waitcnt lgkmcnt(0)
	s_barrier
	global_load_dwordx3 v[11:13], v[11:12], off offset:1984
	v_add_co_u32_e64 v14, s[2:3], s17, v17
	v_addc_co_u32_e64 v15, s[2:3], 0, v18, s[2:3]
	global_load_dwordx3 v[14:16], v[14:15], off offset:4032
	v_add_co_u32_e64 v17, s[2:3], s16, v17
	v_addc_co_u32_e64 v18, s[2:3], 0, v18, s[2:3]
	global_load_dwordx3 v[17:19], v[17:18], off offset:1984
	ds_read2st64_b32 v[30:31], v39 offset1:8
	ds_read2st64_b32 v[35:36], v39 offset0:16 offset1:24
	ds_read2st64_b32 v[27:28], v39 offset0:32 offset1:48
	;; [unrolled: 1-line block ×3, first 2 shown]
	ds_read_b32 v57, v42
	ds_read_b32 v58, v39 offset:20480
	ds_read_b32 v60, v45
	ds_read_b32 v61, v44
	s_waitcnt lgkmcnt(6)
	v_lshrrev_b32_e32 v34, 16, v36
	s_waitcnt lgkmcnt(5)
	v_lshrrev_b32_e32 v37, 16, v28
	;; [unrolled: 2-line block ×3, first 2 shown]
	v_lshrrev_b32_e32 v59, 16, v27
	s_waitcnt lgkmcnt(3)
	v_lshrrev_b32_e32 v62, 16, v57
	s_waitcnt lgkmcnt(2)
	;; [unrolled: 2-line block ×3, first 2 shown]
	v_lshrrev_b32_e32 v64, 16, v60
	v_lshrrev_b32_e32 v66, 16, v32
	;; [unrolled: 1-line block ×3, first 2 shown]
	s_waitcnt lgkmcnt(0)
	v_lshrrev_b32_e32 v67, 16, v61
	v_lshrrev_b32_e32 v41, 16, v31
	;; [unrolled: 1-line block ×3, first 2 shown]
	v_or_b32_e32 v40, 0x600, v0
	v_or_b32_e32 v43, 0xc00, v0
	;; [unrolled: 1-line block ×3, first 2 shown]
	v_lshlrev_b32_e32 v43, 2, v43
	s_waitcnt vmcnt(2)
	v_mul_f16_sdwa v68, v34, v11 dst_sel:DWORD dst_unused:UNUSED_PAD src0_sel:DWORD src1_sel:WORD_1
	v_fma_f16 v68, v36, v11, -v68
	v_mul_f16_sdwa v36, v36, v11 dst_sel:DWORD dst_unused:UNUSED_PAD src0_sel:DWORD src1_sel:WORD_1
	v_fma_f16 v34, v34, v11, v36
	v_mul_f16_sdwa v36, v37, v12 dst_sel:DWORD dst_unused:UNUSED_PAD src0_sel:DWORD src1_sel:WORD_1
	v_fma_f16 v36, v28, v12, -v36
	v_mul_f16_sdwa v28, v28, v12 dst_sel:DWORD dst_unused:UNUSED_PAD src0_sel:DWORD src1_sel:WORD_1
	v_fma_f16 v28, v37, v12, v28
	;; [unrolled: 4-line block ×3, first 2 shown]
	s_waitcnt vmcnt(1)
	v_mul_f16_sdwa v38, v59, v14 dst_sel:DWORD dst_unused:UNUSED_PAD src0_sel:DWORD src1_sel:WORD_1
	v_fma_f16 v38, v27, v14, -v38
	v_mul_f16_sdwa v27, v27, v14 dst_sel:DWORD dst_unused:UNUSED_PAD src0_sel:DWORD src1_sel:WORD_1
	v_fma_f16 v70, v59, v14, v27
	v_mul_f16_sdwa v27, v62, v15 dst_sel:DWORD dst_unused:UNUSED_PAD src0_sel:DWORD src1_sel:WORD_1
	v_fma_f16 v71, v57, v15, -v27
	v_mul_f16_sdwa v27, v57, v15 dst_sel:DWORD dst_unused:UNUSED_PAD src0_sel:DWORD src1_sel:WORD_1
	v_fma_f16 v62, v62, v15, v27
	v_mul_f16_sdwa v27, v63, v16 dst_sel:DWORD dst_unused:UNUSED_PAD src0_sel:DWORD src1_sel:WORD_1
	v_fma_f16 v72, v58, v16, -v27
	v_mul_f16_sdwa v27, v58, v16 dst_sel:DWORD dst_unused:UNUSED_PAD src0_sel:DWORD src1_sel:WORD_1
	v_fma_f16 v63, v63, v16, v27
	s_waitcnt vmcnt(0)
	v_mul_f16_sdwa v27, v64, v17 dst_sel:DWORD dst_unused:UNUSED_PAD src0_sel:DWORD src1_sel:WORD_1
	v_fma_f16 v73, v60, v17, -v27
	v_mul_f16_sdwa v27, v60, v17 dst_sel:DWORD dst_unused:UNUSED_PAD src0_sel:DWORD src1_sel:WORD_1
	v_fma_f16 v74, v64, v17, v27
	v_mul_f16_sdwa v27, v66, v18 dst_sel:DWORD dst_unused:UNUSED_PAD src0_sel:DWORD src1_sel:WORD_1
	v_fma_f16 v75, v32, v18, -v27
	v_mul_f16_sdwa v27, v32, v18 dst_sel:DWORD dst_unused:UNUSED_PAD src0_sel:DWORD src1_sel:WORD_1
	v_fma_f16 v66, v66, v18, v27
	v_mul_f16_sdwa v27, v67, v19 dst_sel:DWORD dst_unused:UNUSED_PAD src0_sel:DWORD src1_sel:WORD_1
	v_sub_f16_e32 v32, v30, v36
	v_sub_f16_e32 v36, v29, v28
	;; [unrolled: 1-line block ×3, first 2 shown]
	v_fma_f16 v76, v61, v19, -v27
	v_mul_f16_sdwa v27, v61, v19 dst_sel:DWORD dst_unused:UNUSED_PAD src0_sel:DWORD src1_sel:WORD_1
	v_add_f16_e32 v57, v36, v37
	v_fma_f16 v67, v67, v19, v27
	v_fma_f16 v28, v30, 2.0, -v32
	v_fma_f16 v30, v29, 2.0, -v36
	v_sub_f16_e32 v33, v34, v33
	v_fma_f16 v27, v68, 2.0, -v37
	v_fma_f16 v58, v36, 2.0, -v57
	v_sub_f16_e32 v36, v41, v62
	v_fma_f16 v29, v34, 2.0, -v33
	v_sub_f16_e32 v27, v28, v27
	;; [unrolled: 2-line block ×3, first 2 shown]
	v_sub_f16_e32 v41, v70, v63
	v_sub_f16_e32 v59, v30, v29
	v_fma_f16 v29, v28, 2.0, -v27
	v_sub_f16_e32 v28, v32, v33
	v_fma_f16 v33, v38, 2.0, -v37
	v_fma_f16 v38, v70, 2.0, -v41
	v_fma_f16 v60, v30, 2.0, -v59
	v_fma_f16 v30, v32, 2.0, -v28
	v_sub_f16_e32 v32, v31, v71
	v_sub_f16_e32 v63, v34, v38
	v_fma_f16 v31, v31, 2.0, -v32
	v_fma_f16 v64, v34, 2.0, -v63
	v_sub_f16_e32 v34, v32, v41
	v_sub_f16_e32 v41, v65, v66
	;; [unrolled: 1-line block ×4, first 2 shown]
	v_add_f16_e32 v61, v36, v37
	v_fma_f16 v38, v65, 2.0, -v41
	v_sub_f16_e32 v65, v73, v76
	v_fma_f16 v67, v74, 2.0, -v66
	v_fma_f16 v31, v31, 2.0, -v33
	;; [unrolled: 1-line block ×3, first 2 shown]
	v_sub_f16_e32 v36, v35, v75
	v_fma_f16 v37, v73, 2.0, -v65
	v_sub_f16_e32 v68, v38, v67
	v_add_f16_e32 v65, v41, v65
	v_fma_f16 v32, v32, 2.0, -v34
	v_fma_f16 v67, v38, 2.0, -v68
	v_sub_f16_e32 v38, v36, v66
	v_fma_f16 v66, v41, 2.0, -v65
	v_pack_b32_f16 v41, v29, v60
	v_pack_b32_f16 v73, v31, v64
	v_fma_f16 v35, v35, 2.0, -v36
	v_pack_b32_f16 v71, v27, v59
	ds_write2st64_b32 v39, v41, v73 offset1:8
	v_pack_b32_f16 v41, v32, v62
	v_sub_f16_e32 v37, v35, v37
	ds_write2st64_b32 v39, v41, v71 offset0:32 offset1:48
	v_pack_b32_f16 v41, v33, v63
	v_fma_f16 v35, v35, 2.0, -v37
	ds_write_b32 v42, v41
	v_pack_b32_f16 v41, v34, v61
	v_fma_f16 v36, v36, 2.0, -v38
	v_pack_b32_f16 v70, v30, v58
	ds_write_b32 v39, v41 offset:20480
	v_pack_b32_f16 v41, v35, v67
	ds_write2st64_b32 v39, v41, v70 offset0:16 offset1:24
	v_pack_b32_f16 v41, v36, v66
	v_pack_b32_f16 v72, v28, v57
	ds_write_b32 v45, v41
	v_pack_b32_f16 v41, v37, v68
	ds_write2st64_b32 v39, v41, v72 offset0:64 offset1:72
	v_pack_b32_f16 v41, v38, v65
	ds_write_b32 v44, v41
	v_lshlrev_b32_e32 v41, 2, v40
	v_lshlrev_b32_e32 v40, 2, v69
	s_waitcnt lgkmcnt(0)
	s_barrier
	s_and_saveexec_b64 s[4:5], vcc
	s_cbranch_execz .LBB0_15
; %bb.14:
	s_add_u32 s6, s12, 0x6000
	s_addc_u32 s7, s13, 0
	global_load_dword v74, v39, s[6:7]
	ds_read2st64_b32 v[71:72], v39 offset1:6
	v_add_co_u32_e64 v69, s[2:3], s6, v39
	v_mov_b32_e32 v70, s7
	v_addc_co_u32_e64 v70, s[2:3], 0, v70, s[2:3]
	s_waitcnt lgkmcnt(0)
	v_lshrrev_b32_e32 v73, 16, v71
	s_waitcnt vmcnt(0)
	v_mul_f16_sdwa v75, v73, v74 dst_sel:DWORD dst_unused:UNUSED_PAD src0_sel:DWORD src1_sel:WORD_1
	v_fma_f16 v75, v71, v74, -v75
	v_mul_f16_sdwa v71, v71, v74 dst_sel:DWORD dst_unused:UNUSED_PAD src0_sel:DWORD src1_sel:WORD_1
	v_fma_f16 v71, v73, v74, v71
	global_load_dword v74, v39, s[6:7] offset:1536
	v_lshrrev_b32_e32 v73, 16, v72
	v_pack_b32_f16 v71, v75, v71
	s_waitcnt vmcnt(0)
	v_mul_f16_sdwa v75, v73, v74 dst_sel:DWORD dst_unused:UNUSED_PAD src0_sel:DWORD src1_sel:WORD_1
	v_fma_f16 v75, v72, v74, -v75
	v_mul_f16_sdwa v72, v72, v74 dst_sel:DWORD dst_unused:UNUSED_PAD src0_sel:DWORD src1_sel:WORD_1
	v_fma_f16 v72, v73, v74, v72
	global_load_dword v74, v39, s[6:7] offset:3072
	v_pack_b32_f16 v72, v75, v72
	ds_write2st64_b32 v39, v71, v72 offset1:6
	ds_read2st64_b32 v[71:72], v39 offset0:12 offset1:18
	s_waitcnt lgkmcnt(0)
	v_lshrrev_b32_e32 v73, 16, v71
	s_waitcnt vmcnt(0)
	v_mul_f16_sdwa v75, v73, v74 dst_sel:DWORD dst_unused:UNUSED_PAD src0_sel:DWORD src1_sel:WORD_1
	v_fma_f16 v75, v71, v74, -v75
	v_mul_f16_sdwa v71, v71, v74 dst_sel:DWORD dst_unused:UNUSED_PAD src0_sel:DWORD src1_sel:WORD_1
	v_fma_f16 v71, v73, v74, v71
	v_add_co_u32_e64 v73, s[2:3], s18, v69
	v_addc_co_u32_e64 v74, s[2:3], 0, v70, s[2:3]
	global_load_dword v76, v[73:74], off offset:512
	v_pack_b32_f16 v71, v75, v71
	v_lshrrev_b32_e32 v75, 16, v72
	global_load_dword v73, v[73:74], off offset:3584
	s_waitcnt vmcnt(1)
	v_mul_f16_sdwa v77, v75, v76 dst_sel:DWORD dst_unused:UNUSED_PAD src0_sel:DWORD src1_sel:WORD_1
	v_fma_f16 v77, v72, v76, -v77
	v_mul_f16_sdwa v72, v72, v76 dst_sel:DWORD dst_unused:UNUSED_PAD src0_sel:DWORD src1_sel:WORD_1
	v_fma_f16 v72, v75, v76, v72
	global_load_dword v76, v41, s[6:7]
	v_pack_b32_f16 v72, v77, v72
	ds_write2st64_b32 v39, v71, v72 offset0:12 offset1:18
	ds_read2st64_b32 v[71:72], v39 offset0:24 offset1:30
	s_waitcnt lgkmcnt(0)
	v_lshrrev_b32_e32 v75, 16, v71
	s_waitcnt vmcnt(0)
	v_mul_f16_sdwa v77, v75, v76 dst_sel:DWORD dst_unused:UNUSED_PAD src0_sel:DWORD src1_sel:WORD_1
	v_fma_f16 v77, v71, v76, -v77
	v_mul_f16_sdwa v71, v71, v76 dst_sel:DWORD dst_unused:UNUSED_PAD src0_sel:DWORD src1_sel:WORD_1
	v_fma_f16 v71, v75, v76, v71
	v_lshrrev_b32_e32 v75, 16, v72
	v_mul_f16_sdwa v74, v75, v73 dst_sel:DWORD dst_unused:UNUSED_PAD src0_sel:DWORD src1_sel:WORD_1
	v_fma_f16 v74, v72, v73, -v74
	v_mul_f16_sdwa v72, v72, v73 dst_sel:DWORD dst_unused:UNUSED_PAD src0_sel:DWORD src1_sel:WORD_1
	v_fma_f16 v72, v75, v73, v72
	v_add_co_u32_e64 v73, s[2:3], s17, v69
	v_pack_b32_f16 v72, v74, v72
	v_addc_co_u32_e64 v74, s[2:3], 0, v70, s[2:3]
	global_load_dword v76, v[73:74], off offset:1024
	v_pack_b32_f16 v71, v77, v71
	global_load_dword v73, v[73:74], off offset:2560
	ds_write2st64_b32 v39, v71, v72 offset0:24 offset1:30
	ds_read2st64_b32 v[71:72], v39 offset0:36 offset1:42
	s_movk_i32 s2, 0x3000
	s_waitcnt lgkmcnt(0)
	v_lshrrev_b32_e32 v75, 16, v71
	s_waitcnt vmcnt(1)
	v_mul_f16_sdwa v77, v75, v76 dst_sel:DWORD dst_unused:UNUSED_PAD src0_sel:DWORD src1_sel:WORD_1
	v_fma_f16 v77, v71, v76, -v77
	v_mul_f16_sdwa v71, v71, v76 dst_sel:DWORD dst_unused:UNUSED_PAD src0_sel:DWORD src1_sel:WORD_1
	v_fma_f16 v71, v75, v76, v71
	v_lshrrev_b32_e32 v75, 16, v72
	s_waitcnt vmcnt(0)
	v_mul_f16_sdwa v74, v75, v73 dst_sel:DWORD dst_unused:UNUSED_PAD src0_sel:DWORD src1_sel:WORD_1
	v_fma_f16 v74, v72, v73, -v74
	v_mul_f16_sdwa v72, v72, v73 dst_sel:DWORD dst_unused:UNUSED_PAD src0_sel:DWORD src1_sel:WORD_1
	v_fma_f16 v72, v75, v73, v72
	v_pack_b32_f16 v72, v74, v72
	global_load_dword v74, v43, s[6:7]
	v_pack_b32_f16 v71, v77, v71
	ds_write2st64_b32 v39, v71, v72 offset0:36 offset1:42
	ds_read2st64_b32 v[71:72], v39 offset0:48 offset1:54
	s_waitcnt lgkmcnt(0)
	v_lshrrev_b32_e32 v73, 16, v71
	s_waitcnt vmcnt(0)
	v_mul_f16_sdwa v75, v73, v74 dst_sel:DWORD dst_unused:UNUSED_PAD src0_sel:DWORD src1_sel:WORD_1
	v_fma_f16 v75, v71, v74, -v75
	v_mul_f16_sdwa v71, v71, v74 dst_sel:DWORD dst_unused:UNUSED_PAD src0_sel:DWORD src1_sel:WORD_1
	v_fma_f16 v71, v73, v74, v71
	v_add_co_u32_e64 v73, s[2:3], s2, v69
	v_addc_co_u32_e64 v74, s[2:3], 0, v70, s[2:3]
	global_load_dword v76, v[73:74], off offset:1536
	v_pack_b32_f16 v71, v75, v71
	global_load_dword v73, v[73:74], off offset:3072
	v_lshrrev_b32_e32 v75, 16, v72
	s_waitcnt vmcnt(1)
	v_mul_f16_sdwa v77, v75, v76 dst_sel:DWORD dst_unused:UNUSED_PAD src0_sel:DWORD src1_sel:WORD_1
	v_fma_f16 v77, v72, v76, -v77
	v_mul_f16_sdwa v72, v72, v76 dst_sel:DWORD dst_unused:UNUSED_PAD src0_sel:DWORD src1_sel:WORD_1
	v_fma_f16 v72, v75, v76, v72
	v_pack_b32_f16 v72, v77, v72
	ds_write2st64_b32 v39, v71, v72 offset0:48 offset1:54
	ds_read2st64_b32 v[71:72], v39 offset0:60 offset1:66
	s_waitcnt lgkmcnt(0)
	v_lshrrev_b32_e32 v75, 16, v71
	s_waitcnt vmcnt(0)
	v_mul_f16_sdwa v74, v75, v73 dst_sel:DWORD dst_unused:UNUSED_PAD src0_sel:DWORD src1_sel:WORD_1
	v_fma_f16 v74, v71, v73, -v74
	v_mul_f16_sdwa v71, v71, v73 dst_sel:DWORD dst_unused:UNUSED_PAD src0_sel:DWORD src1_sel:WORD_1
	v_fma_f16 v71, v75, v73, v71
	v_add_co_u32_e64 v73, s[2:3], s16, v69
	v_pack_b32_f16 v71, v74, v71
	v_addc_co_u32_e64 v74, s[2:3], 0, v70, s[2:3]
	global_load_dword v76, v[73:74], off offset:512
	v_lshrrev_b32_e32 v75, 16, v72
	s_movk_i32 s2, 0x5000
	v_add_co_u32_e64 v69, s[2:3], s2, v69
	v_addc_co_u32_e64 v70, s[2:3], 0, v70, s[2:3]
	global_load_dword v73, v[73:74], off offset:3584
	s_waitcnt vmcnt(1)
	v_mul_f16_sdwa v77, v75, v76 dst_sel:DWORD dst_unused:UNUSED_PAD src0_sel:DWORD src1_sel:WORD_1
	v_fma_f16 v77, v72, v76, -v77
	v_mul_f16_sdwa v72, v72, v76 dst_sel:DWORD dst_unused:UNUSED_PAD src0_sel:DWORD src1_sel:WORD_1
	v_fma_f16 v72, v75, v76, v72
	global_load_dword v76, v40, s[6:7]
	v_pack_b32_f16 v72, v77, v72
	ds_write2st64_b32 v39, v71, v72 offset0:60 offset1:66
	ds_read2st64_b32 v[71:72], v39 offset0:72 offset1:78
	s_waitcnt lgkmcnt(0)
	v_lshrrev_b32_e32 v75, 16, v71
	s_waitcnt vmcnt(0)
	v_mul_f16_sdwa v77, v75, v76 dst_sel:DWORD dst_unused:UNUSED_PAD src0_sel:DWORD src1_sel:WORD_1
	v_fma_f16 v77, v71, v76, -v77
	v_mul_f16_sdwa v71, v71, v76 dst_sel:DWORD dst_unused:UNUSED_PAD src0_sel:DWORD src1_sel:WORD_1
	v_fma_f16 v71, v75, v76, v71
	v_lshrrev_b32_e32 v75, 16, v72
	v_mul_f16_sdwa v74, v75, v73 dst_sel:DWORD dst_unused:UNUSED_PAD src0_sel:DWORD src1_sel:WORD_1
	v_fma_f16 v74, v72, v73, -v74
	v_mul_f16_sdwa v72, v72, v73 dst_sel:DWORD dst_unused:UNUSED_PAD src0_sel:DWORD src1_sel:WORD_1
	v_fma_f16 v72, v75, v73, v72
	v_pack_b32_f16 v72, v74, v72
	global_load_dword v74, v[69:70], off offset:1024
	v_pack_b32_f16 v71, v77, v71
	global_load_dword v69, v[69:70], off offset:2560
	ds_write2st64_b32 v39, v71, v72 offset0:72 offset1:78
	ds_read2st64_b32 v[71:72], v39 offset0:84 offset1:90
	s_waitcnt lgkmcnt(0)
	v_lshrrev_b32_e32 v73, 16, v71
	s_waitcnt vmcnt(1)
	v_mul_f16_sdwa v75, v73, v74 dst_sel:DWORD dst_unused:UNUSED_PAD src0_sel:DWORD src1_sel:WORD_1
	v_fma_f16 v75, v71, v74, -v75
	v_mul_f16_sdwa v71, v71, v74 dst_sel:DWORD dst_unused:UNUSED_PAD src0_sel:DWORD src1_sel:WORD_1
	v_fma_f16 v71, v73, v74, v71
	v_lshrrev_b32_e32 v73, 16, v72
	s_waitcnt vmcnt(0)
	v_mul_f16_sdwa v70, v73, v69 dst_sel:DWORD dst_unused:UNUSED_PAD src0_sel:DWORD src1_sel:WORD_1
	v_fma_f16 v70, v72, v69, -v70
	v_mul_f16_sdwa v72, v72, v69 dst_sel:DWORD dst_unused:UNUSED_PAD src0_sel:DWORD src1_sel:WORD_1
	v_fma_f16 v69, v73, v69, v72
	v_pack_b32_f16 v71, v75, v71
	v_pack_b32_f16 v69, v70, v69
	ds_write2st64_b32 v39, v71, v69 offset0:84 offset1:90
.LBB0_15:
	s_or_b64 exec, exec, s[4:5]
	s_waitcnt lgkmcnt(0)
	s_barrier
	s_and_saveexec_b64 s[2:3], vcc
	s_cbranch_execz .LBB0_17
; %bb.16:
	ds_read2st64_b32 v[29:30], v39 offset1:6
	ds_read2st64_b32 v[27:28], v39 offset0:12 offset1:18
	ds_read2st64_b32 v[31:32], v39 offset0:24 offset1:30
	;; [unrolled: 1-line block ×7, first 2 shown]
	s_waitcnt lgkmcnt(7)
	v_lshrrev_b32_e32 v60, 16, v29
	v_lshrrev_b32_e32 v58, 16, v30
	s_waitcnt lgkmcnt(6)
	v_lshrrev_b32_e32 v59, 16, v27
	v_lshrrev_b32_e32 v57, 16, v28
	;; [unrolled: 3-line block ×8, first 2 shown]
.LBB0_17:
	s_or_b64 exec, exec, s[2:3]
	v_sub_f16_e32 v35, v29, v35
	v_sub_f16_e32 v23, v31, v23
	;; [unrolled: 1-line block ×3, first 2 shown]
	v_fma_f16 v69, v29, 2.0, -v35
	v_fma_f16 v29, v31, 2.0, -v23
	;; [unrolled: 1-line block ×3, first 2 shown]
	v_sub_f16_e32 v37, v27, v37
	v_sub_f16_e32 v64, v59, v68
	;; [unrolled: 1-line block ×6, first 2 shown]
	v_fma_f16 v68, v27, 2.0, -v37
	v_fma_f16 v59, v59, 2.0, -v64
	;; [unrolled: 1-line block ×4, first 2 shown]
	v_sub_f16_e32 v36, v30, v36
	v_fma_f16 v73, v58, 2.0, -v72
	v_sub_f16_e32 v24, v32, v24
	v_add_f16_e32 v58, v55, v35
	v_fma_f16 v66, v30, 2.0, -v36
	v_fma_f16 v74, v32, 2.0, -v24
	v_sub_f16_e32 v38, v28, v38
	v_sub_f16_e32 v76, v34, v26
	;; [unrolled: 1-line block ×3, first 2 shown]
	v_fma_f16 v30, v35, 2.0, -v58
	v_sub_f16_e32 v23, v68, v71
	v_sub_f16_e32 v35, v59, v63
	v_fma_f16 v60, v60, 2.0, -v67
	v_sub_f16_e32 v53, v62, v53
	v_sub_f16_e32 v65, v57, v65
	v_fma_f16 v75, v28, 2.0, -v38
	v_sub_f16_e32 v54, v61, v54
	v_fma_f16 v34, v34, 2.0, -v76
	;; [unrolled: 2-line block ×3, first 2 shown]
	v_fma_f16 v63, v68, 2.0, -v23
	v_fma_f16 v67, v59, 2.0, -v35
	v_add_f16_e32 v68, v56, v37
	v_sub_f16_e32 v70, v64, v70
	v_sub_f16_e32 v59, v66, v74
	v_fma_f16 v62, v62, 2.0, -v53
	v_fma_f16 v57, v57, 2.0, -v65
	;; [unrolled: 1-line block ×3, first 2 shown]
	v_sub_f16_e32 v29, v60, v31
	v_fma_f16 v26, v69, 2.0, -v32
	v_fma_f16 v37, v37, 2.0, -v68
	v_fma_f16 v69, v64, 2.0, -v70
	v_fma_f16 v31, v66, 2.0, -v59
	v_add_f16_e32 v64, v53, v36
	v_sub_f16_e32 v66, v72, v24
	v_sub_f16_e32 v24, v75, v34
	s_mov_b32 s4, 0xb9a8
	v_fma_f16 v25, v60, 2.0, -v29
	v_sub_f16_e32 v60, v73, v62
	v_fma_f16 v55, v36, 2.0, -v64
	v_sub_f16_e32 v36, v57, v61
	v_fma_f16 v53, v75, 2.0, -v24
	v_add_f16_e32 v54, v54, v38
	v_sub_f16_e32 v75, v65, v76
	v_fma_f16 v62, v37, s4, v30
	s_movk_i32 s5, 0x39a8
	v_fma_f16 v56, v72, 2.0, -v66
	v_fma_f16 v61, v57, 2.0, -v36
	;; [unrolled: 1-line block ×4, first 2 shown]
	v_sub_f16_e32 v57, v26, v63
	v_sub_f16_e32 v34, v25, v67
	v_fma_f16 v63, v69, s4, v27
	v_fma_f16 v65, v69, s5, v62
	v_add_f16_e32 v69, v35, v32
	v_sub_f16_e32 v67, v29, v23
	v_fma_f16 v23, v68, s5, v58
	v_fma_f16 v35, v70, s5, v33
	;; [unrolled: 1-line block ×6, first 2 shown]
	v_fma_f16 v28, v73, 2.0, -v60
	v_fma_f16 v62, v37, s4, v63
	v_fma_f16 v68, v72, s5, v23
	;; [unrolled: 1-line block ×3, first 2 shown]
	v_sub_f16_e32 v73, v60, v24
	v_fma_f16 v23, v54, s5, v64
	v_fma_f16 v24, v75, s5, v66
	s_movk_i32 s6, 0x361f
	v_add_f16_e32 v72, v36, v59
	v_fma_f16 v75, v75, s5, v23
	v_fma_f16 v76, v54, s4, v24
	v_fma_f16 v24, v70, s6, v62
	s_movk_i32 s17, 0x3b64
	s_mov_b32 s7, 0xbb64
	v_sub_f16_e32 v63, v31, v53
	v_sub_f16_e32 v61, v28, v61
	v_fma_f16 v23, v68, s6, v65
	v_fma_f16 v38, v68, s7, v24
	;; [unrolled: 1-line block ×6, first 2 shown]
	s_mov_b32 s16, 0xb61f
	v_add_f16_e32 v35, v61, v57
	v_sub_f16_e32 v36, v34, v63
	v_fma_f16 v23, v70, s17, v23
	v_fma_f16 v24, v73, s5, v24
	;; [unrolled: 1-line block ×5, first 2 shown]
	s_barrier
	s_and_saveexec_b64 s[2:3], vcc
	s_cbranch_execz .LBB0_19
; %bb.18:
	v_fma_f16 v58, v58, 2.0, -v74
	v_fma_f16 v64, v64, 2.0, -v75
	;; [unrolled: 1-line block ×4, first 2 shown]
	v_fma_f16 v74, v64, s16, v58
	v_fma_f16 v33, v33, 2.0, -v71
	v_fma_f16 v74, v66, s17, v74
	v_fma_f16 v66, v66, s16, v33
	v_fma_f16 v32, v32, 2.0, -v69
	v_fma_f16 v59, v59, 2.0, -v72
	v_fma_f16 v64, v64, s7, v66
	v_fma_f16 v60, v60, 2.0, -v73
	v_fma_f16 v66, v59, s4, v32
	;; [unrolled: 2-line block ×3, first 2 shown]
	v_fma_f16 v60, v60, s4, v29
	v_fma_f16 v30, v30, 2.0, -v65
	v_fma_f16 v55, v55, 2.0, -v68
	v_fma_f16 v59, v59, s4, v60
	v_fma_f16 v56, v56, 2.0, -v70
	v_fma_f16 v60, v55, s7, v30
	;; [unrolled: 2-line block ×3, first 2 shown]
	v_fma_f16 v56, v56, s7, v27
	v_fma_f16 v55, v55, s16, v56
	v_fma_f16 v56, v27, 2.0, -v55
	v_fma_f16 v26, v26, 2.0, -v57
	;; [unrolled: 1-line block ×3, first 2 shown]
	v_sub_f16_e32 v31, v26, v27
	v_fma_f16 v25, v25, 2.0, -v34
	v_fma_f16 v27, v28, 2.0, -v61
	;; [unrolled: 1-line block ×3, first 2 shown]
	v_sub_f16_e32 v34, v25, v27
	v_fma_f16 v58, v58, 2.0, -v74
	v_fma_f16 v33, v33, 2.0, -v64
	;; [unrolled: 1-line block ×13, first 2 shown]
	v_pack_b32_f16 v25, v26, v25
	v_pack_b32_f16 v28, v58, v33
	;; [unrolled: 1-line block ×4, first 2 shown]
	ds_write_b128 v47, v[25:28]
	v_pack_b32_f16 v28, v77, v78
	v_pack_b32_f16 v27, v79, v80
	;; [unrolled: 1-line block ×4, first 2 shown]
	ds_write_b128 v47, v[25:28] offset:16
	v_pack_b32_f16 v25, v31, v34
	v_pack_b32_f16 v28, v74, v64
	;; [unrolled: 1-line block ×4, first 2 shown]
	s_mov_b32 s4, 0x5040100
	ds_write_b128 v47, v[25:28] offset:32
	v_perm_b32 v28, v54, v53, s4
	v_perm_b32 v27, v37, v24, s4
	;; [unrolled: 1-line block ×4, first 2 shown]
	ds_write_b128 v47, v[25:28] offset:48
.LBB0_19:
	s_or_b64 exec, exec, s[2:3]
	s_waitcnt lgkmcnt(0)
	s_barrier
	ds_read2st64_b32 v[25:26], v39 offset1:8
	ds_read2st64_b32 v[27:28], v39 offset0:16 offset1:24
	ds_read2st64_b32 v[29:30], v39 offset0:32 offset1:48
	;; [unrolled: 1-line block ×3, first 2 shown]
	ds_read_b32 v57, v42
	ds_read_b32 v58, v39 offset:20480
	ds_read_b32 v60, v45
	ds_read_b32 v61, v44
	s_waitcnt lgkmcnt(6)
	v_lshrrev_b32_e32 v34, 16, v28
	v_mul_f16_sdwa v68, v5, v34 dst_sel:DWORD dst_unused:UNUSED_PAD src0_sel:WORD_1 src1_sel:DWORD
	s_waitcnt lgkmcnt(5)
	v_lshrrev_b32_e32 v47, 16, v30
	v_fma_f16 v68, v5, v28, v68
	v_mul_f16_sdwa v28, v5, v28 dst_sel:DWORD dst_unused:UNUSED_PAD src0_sel:WORD_1 src1_sel:DWORD
	v_fma_f16 v28, v5, v34, -v28
	v_mul_f16_sdwa v34, v6, v47 dst_sel:DWORD dst_unused:UNUSED_PAD src0_sel:WORD_1 src1_sel:DWORD
	s_waitcnt lgkmcnt(4)
	v_lshrrev_b32_e32 v55, 16, v32
	v_fma_f16 v34, v6, v30, v34
	v_mul_f16_sdwa v30, v6, v30 dst_sel:DWORD dst_unused:UNUSED_PAD src0_sel:WORD_1 src1_sel:DWORD
	v_fma_f16 v30, v6, v47, -v30
	v_mul_f16_sdwa v47, v7, v55 dst_sel:DWORD dst_unused:UNUSED_PAD src0_sel:WORD_1 src1_sel:DWORD
	v_lshrrev_b32_e32 v59, 16, v29
	v_fma_f16 v47, v7, v32, v47
	v_mul_f16_sdwa v32, v7, v32 dst_sel:DWORD dst_unused:UNUSED_PAD src0_sel:WORD_1 src1_sel:DWORD
	v_fma_f16 v32, v7, v55, -v32
	v_mul_f16_sdwa v55, v5, v59 dst_sel:DWORD dst_unused:UNUSED_PAD src0_sel:WORD_1 src1_sel:DWORD
	s_waitcnt lgkmcnt(3)
	v_lshrrev_b32_e32 v62, 16, v57
	v_fma_f16 v55, v5, v29, v55
	v_mul_f16_sdwa v29, v5, v29 dst_sel:DWORD dst_unused:UNUSED_PAD src0_sel:WORD_1 src1_sel:DWORD
	v_fma_f16 v29, v5, v59, -v29
	v_mul_f16_sdwa v59, v6, v62 dst_sel:DWORD dst_unused:UNUSED_PAD src0_sel:WORD_1 src1_sel:DWORD
	s_waitcnt lgkmcnt(2)
	;; [unrolled: 6-line block ×3, first 2 shown]
	v_lshrrev_b32_e32 v65, 16, v60
	v_fma_f16 v62, v7, v58, v62
	v_mul_f16_sdwa v58, v7, v58 dst_sel:DWORD dst_unused:UNUSED_PAD src0_sel:WORD_1 src1_sel:DWORD
	v_fma_f16 v58, v7, v63, -v58
	v_mul_f16_sdwa v63, v5, v65 dst_sel:DWORD dst_unused:UNUSED_PAD src0_sel:WORD_1 src1_sel:DWORD
	v_lshrrev_b32_e32 v66, 16, v31
	v_fma_f16 v63, v5, v60, v63
	v_mul_f16_sdwa v60, v5, v60 dst_sel:DWORD dst_unused:UNUSED_PAD src0_sel:WORD_1 src1_sel:DWORD
	v_fma_f16 v5, v5, v65, -v60
	v_mul_f16_sdwa v60, v6, v66 dst_sel:DWORD dst_unused:UNUSED_PAD src0_sel:WORD_1 src1_sel:DWORD
	s_waitcnt lgkmcnt(0)
	v_lshrrev_b32_e32 v67, 16, v61
	v_fma_f16 v60, v6, v31, v60
	v_mul_f16_sdwa v31, v6, v31 dst_sel:DWORD dst_unused:UNUSED_PAD src0_sel:WORD_1 src1_sel:DWORD
	v_fma_f16 v6, v6, v66, -v31
	v_mul_f16_sdwa v31, v7, v67 dst_sel:DWORD dst_unused:UNUSED_PAD src0_sel:WORD_1 src1_sel:DWORD
	v_fma_f16 v31, v7, v61, v31
	v_mul_f16_sdwa v61, v7, v61 dst_sel:DWORD dst_unused:UNUSED_PAD src0_sel:WORD_1 src1_sel:DWORD
	v_sub_f16_e32 v34, v25, v34
	v_sub_f16_e32 v47, v68, v47
	v_lshrrev_b32_e32 v33, 16, v25
	v_fma_f16 v7, v7, v67, -v61
	v_fma_f16 v25, v25, 2.0, -v34
	v_fma_f16 v61, v68, 2.0, -v47
	v_lshrrev_b32_e32 v56, 16, v26
	v_sub_f16_e32 v30, v33, v30
	v_sub_f16_e32 v61, v25, v61
	v_sub_f16_e32 v32, v28, v32
	v_fma_f16 v65, v25, 2.0, -v61
	v_sub_f16_e32 v66, v30, v47
	v_sub_f16_e32 v25, v26, v59
	;; [unrolled: 1-line block ×4, first 2 shown]
	v_fma_f16 v33, v33, 2.0, -v30
	v_fma_f16 v28, v28, 2.0, -v32
	v_fma_f16 v26, v26, 2.0, -v25
	v_sub_f16_e32 v58, v29, v58
	v_fma_f16 v55, v55, 2.0, -v57
	v_lshrrev_b32_e32 v64, 16, v27
	v_sub_f16_e32 v28, v33, v28
	v_add_f16_e32 v32, v34, v32
	v_fma_f16 v56, v56, 2.0, -v47
	v_fma_f16 v29, v29, 2.0, -v58
	v_sub_f16_e32 v59, v26, v55
	v_sub_f16_e32 v55, v27, v60
	v_fma_f16 v33, v33, 2.0, -v28
	v_fma_f16 v34, v34, 2.0, -v32
	;; [unrolled: 1-line block ×3, first 2 shown]
	v_sub_f16_e32 v29, v56, v29
	v_sub_f16_e32 v60, v64, v6
	v_fma_f16 v6, v27, 2.0, -v55
	v_sub_f16_e32 v27, v63, v31
	v_sub_f16_e32 v31, v5, v7
	v_fma_f16 v62, v26, 2.0, -v59
	v_fma_f16 v67, v56, 2.0, -v29
	v_add_f16_e32 v58, v25, v58
	v_sub_f16_e32 v57, v47, v57
	v_fma_f16 v26, v64, 2.0, -v60
	v_fma_f16 v7, v63, 2.0, -v27
	v_fma_f16 v5, v5, 2.0, -v31
	v_sub_f16_e32 v56, v60, v27
	v_pack_b32_f16 v27, v65, v33
	v_pack_b32_f16 v30, v34, v30
	v_fma_f16 v68, v25, 2.0, -v58
	v_fma_f16 v69, v47, 2.0, -v57
	v_sub_f16_e32 v47, v26, v5
	s_barrier
	ds_write2_b32 v48, v27, v30 offset1:16
	v_pack_b32_f16 v27, v61, v28
	v_pack_b32_f16 v28, v32, v66
	v_sub_f16_e32 v25, v6, v7
	v_fma_f16 v7, v26, 2.0, -v47
	v_add_f16_e32 v26, v55, v31
	ds_write2_b32 v48, v27, v28 offset0:32 offset1:48
	v_pack_b32_f16 v27, v62, v67
	v_pack_b32_f16 v28, v68, v69
	v_fma_f16 v5, v6, 2.0, -v25
	v_fma_f16 v6, v55, 2.0, -v26
	;; [unrolled: 1-line block ×3, first 2 shown]
	ds_write2_b32 v49, v27, v28 offset1:16
	v_pack_b32_f16 v27, v59, v29
	v_pack_b32_f16 v28, v58, v57
	ds_write2_b32 v49, v27, v28 offset0:32 offset1:48
	v_pack_b32_f16 v27, v5, v7
	v_pack_b32_f16 v28, v6, v55
	ds_write2_b32 v50, v27, v28 offset1:16
	v_pack_b32_f16 v27, v25, v47
	v_pack_b32_f16 v28, v26, v56
	ds_write2_b32 v50, v27, v28 offset0:32 offset1:48
	s_waitcnt lgkmcnt(0)
	s_barrier
	ds_read2st64_b32 v[27:28], v39 offset1:12
	ds_read2st64_b32 v[33:34], v39 offset0:24 offset1:36
	ds_read2st64_b32 v[31:32], v39 offset0:48 offset1:60
	;; [unrolled: 1-line block ×3, first 2 shown]
	s_and_saveexec_b64 s[2:3], s[0:1]
	s_cbranch_execz .LBB0_21
; %bb.20:
	ds_read2st64_b32 v[5:6], v39 offset0:8 offset1:20
	ds_read2st64_b32 v[25:26], v39 offset0:32 offset1:44
	;; [unrolled: 1-line block ×3, first 2 shown]
	ds_read_b32 v35, v42
	ds_read_b32 v53, v39 offset:23552
	s_waitcnt lgkmcnt(4)
	v_lshrrev_b32_e32 v7, 16, v5
	v_lshrrev_b32_e32 v55, 16, v6
	s_waitcnt lgkmcnt(3)
	v_lshrrev_b32_e32 v47, 16, v25
	v_lshrrev_b32_e32 v56, 16, v26
	s_waitcnt lgkmcnt(1)
	v_lshrrev_b32_e32 v36, 16, v35
	v_lshrrev_b32_e32 v38, 16, v23
	v_lshrrev_b32_e32 v37, 16, v24
	s_waitcnt lgkmcnt(0)
	v_lshrrev_b32_e32 v54, 16, v53
.LBB0_21:
	s_or_b64 exec, exec, s[2:3]
	s_waitcnt lgkmcnt(3)
	v_lshrrev_b32_e32 v49, 16, v28
	v_mul_f16_sdwa v62, v1, v49 dst_sel:DWORD dst_unused:UNUSED_PAD src0_sel:WORD_1 src1_sel:DWORD
	s_waitcnt lgkmcnt(2)
	v_lshrrev_b32_e32 v50, 16, v33
	v_fma_f16 v62, v1, v28, v62
	v_mul_f16_sdwa v28, v1, v28 dst_sel:DWORD dst_unused:UNUSED_PAD src0_sel:WORD_1 src1_sel:DWORD
	v_fma_f16 v28, v1, v49, -v28
	v_mul_f16_sdwa v49, v2, v50 dst_sel:DWORD dst_unused:UNUSED_PAD src0_sel:WORD_1 src1_sel:DWORD
	v_lshrrev_b32_e32 v57, 16, v34
	v_fma_f16 v49, v2, v33, v49
	v_mul_f16_sdwa v33, v2, v33 dst_sel:DWORD dst_unused:UNUSED_PAD src0_sel:WORD_1 src1_sel:DWORD
	v_fma_f16 v33, v2, v50, -v33
	v_mul_f16_sdwa v50, v3, v57 dst_sel:DWORD dst_unused:UNUSED_PAD src0_sel:WORD_1 src1_sel:DWORD
	s_waitcnt lgkmcnt(1)
	v_lshrrev_b32_e32 v58, 16, v31
	v_fma_f16 v50, v3, v34, v50
	v_mul_f16_sdwa v34, v3, v34 dst_sel:DWORD dst_unused:UNUSED_PAD src0_sel:WORD_1 src1_sel:DWORD
	v_fma_f16 v34, v3, v57, -v34
	v_mul_f16_sdwa v57, v4, v58 dst_sel:DWORD dst_unused:UNUSED_PAD src0_sel:WORD_1 src1_sel:DWORD
	v_lshrrev_b32_e32 v59, 16, v32
	v_fma_f16 v57, v4, v31, v57
	v_mul_f16_sdwa v31, v4, v31 dst_sel:DWORD dst_unused:UNUSED_PAD src0_sel:WORD_1 src1_sel:DWORD
	v_fma_f16 v31, v4, v58, -v31
	;; [unrolled: 11-line block ×3, first 2 shown]
	v_mul_f16_sdwa v60, v10, v61 dst_sel:DWORD dst_unused:UNUSED_PAD src0_sel:WORD_1 src1_sel:DWORD
	v_fma_f16 v60, v10, v30, v60
	v_mul_f16_sdwa v30, v10, v30 dst_sel:DWORD dst_unused:UNUSED_PAD src0_sel:WORD_1 src1_sel:DWORD
	v_lshrrev_b32_e32 v48, 16, v27
	v_fma_f16 v30, v10, v61, -v30
	v_sub_f16_e32 v57, v27, v57
	v_sub_f16_e32 v31, v48, v31
	;; [unrolled: 1-line block ×8, first 2 shown]
	v_fma_f16 v27, v27, 2.0, -v57
	v_fma_f16 v48, v48, 2.0, -v31
	;; [unrolled: 1-line block ×8, first 2 shown]
	v_add_f16_e32 v29, v57, v29
	v_sub_f16_e32 v59, v31, v59
	v_add_f16_e32 v30, v58, v30
	v_sub_f16_e32 v60, v32, v60
	v_sub_f16_e32 v49, v27, v49
	;; [unrolled: 1-line block ×3, first 2 shown]
	v_fma_f16 v57, v57, 2.0, -v29
	v_fma_f16 v31, v31, 2.0, -v59
	v_sub_f16_e32 v50, v61, v50
	v_sub_f16_e32 v34, v28, v34
	v_fma_f16 v58, v58, 2.0, -v30
	v_fma_f16 v32, v32, 2.0, -v60
	s_mov_b32 s4, 0xb9a8
	v_fma_f16 v27, v27, 2.0, -v49
	v_fma_f16 v48, v48, 2.0, -v33
	;; [unrolled: 1-line block ×4, first 2 shown]
	v_fma_f16 v62, v58, s4, v57
	v_fma_f16 v63, v32, s4, v31
	v_sub_f16_e32 v61, v27, v61
	v_sub_f16_e32 v28, v48, v28
	v_fma_f16 v32, v32, s5, v62
	v_fma_f16 v58, v58, s4, v63
	;; [unrolled: 1-line block ×4, first 2 shown]
	v_fma_f16 v27, v27, 2.0, -v61
	v_fma_f16 v48, v48, 2.0, -v28
	;; [unrolled: 1-line block ×4, first 2 shown]
	v_add_f16_e32 v34, v49, v34
	v_sub_f16_e32 v50, v33, v50
	v_fma_f16 v60, v60, s5, v62
	v_fma_f16 v30, v30, s4, v63
	v_fma_f16 v49, v49, 2.0, -v34
	v_fma_f16 v33, v33, 2.0, -v50
	;; [unrolled: 1-line block ×4, first 2 shown]
	v_pack_b32_f16 v27, v27, v48
	v_pack_b32_f16 v31, v57, v31
	s_barrier
	ds_write2st64_b32 v52, v27, v31 offset1:1
	v_pack_b32_f16 v27, v49, v33
	v_pack_b32_f16 v29, v29, v59
	ds_write2st64_b32 v52, v27, v29 offset0:2 offset1:3
	v_pack_b32_f16 v27, v61, v28
	v_pack_b32_f16 v28, v32, v58
	ds_write2st64_b32 v52, v27, v28 offset0:4 offset1:5
	;; [unrolled: 3-line block ×3, first 2 shown]
	s_and_saveexec_b64 s[2:3], s[0:1]
	s_cbranch_execz .LBB0_23
; %bb.22:
	v_mul_f16_sdwa v33, v3, v56 dst_sel:DWORD dst_unused:UNUSED_PAD src0_sel:WORD_1 src1_sel:DWORD
	v_fma_f16 v33, v3, v26, v33
	v_mul_f16_sdwa v26, v3, v26 dst_sel:DWORD dst_unused:UNUSED_PAD src0_sel:WORD_1 src1_sel:DWORD
	v_mul_f16_sdwa v29, v4, v36 dst_sel:DWORD dst_unused:UNUSED_PAD src0_sel:WORD_1 src1_sel:DWORD
	;; [unrolled: 1-line block ×3, first 2 shown]
	v_fma_f16 v3, v3, v56, -v26
	v_mul_f16_sdwa v26, v10, v53 dst_sel:DWORD dst_unused:UNUSED_PAD src0_sel:WORD_1 src1_sel:DWORD
	v_fma_f16 v29, v4, v35, v29
	v_mul_f16_sdwa v31, v1, v6 dst_sel:DWORD dst_unused:UNUSED_PAD src0_sel:WORD_1 src1_sel:DWORD
	v_fma_f16 v34, v10, v53, v34
	v_fma_f16 v10, v10, v54, -v26
	v_mul_f16_sdwa v26, v1, v55 dst_sel:DWORD dst_unused:UNUSED_PAD src0_sel:WORD_1 src1_sel:DWORD
	v_mul_f16_sdwa v35, v4, v35 dst_sel:DWORD dst_unused:UNUSED_PAD src0_sel:WORD_1 src1_sel:DWORD
	;; [unrolled: 1-line block ×4, first 2 shown]
	v_fma_f16 v31, v1, v55, -v31
	v_fma_f16 v1, v1, v6, v26
	v_mul_f16_sdwa v6, v8, v38 dst_sel:DWORD dst_unused:UNUSED_PAD src0_sel:WORD_1 src1_sel:DWORD
	v_fma_f16 v4, v4, v36, -v35
	v_mul_f16_sdwa v35, v2, v47 dst_sel:DWORD dst_unused:UNUSED_PAD src0_sel:WORD_1 src1_sel:DWORD
	v_fma_f16 v27, v2, v47, -v27
	v_fma_f16 v28, v9, v37, -v28
	v_mul_f16_sdwa v32, v8, v23 dst_sel:DWORD dst_unused:UNUSED_PAD src0_sel:WORD_1 src1_sel:DWORD
	v_fma_f16 v6, v8, v23, v6
	v_fma_f16 v2, v2, v25, v35
	v_mul_f16_sdwa v25, v9, v37 dst_sel:DWORD dst_unused:UNUSED_PAD src0_sel:WORD_1 src1_sel:DWORD
	v_sub_f16_e32 v28, v27, v28
	v_sub_f16_e32 v29, v5, v29
	v_fma_f16 v32, v8, v38, -v32
	v_sub_f16_e32 v10, v3, v10
	v_sub_f16_e32 v6, v1, v6
	v_fma_f16 v9, v9, v24, v25
	v_add_f16_e32 v30, v28, v29
	v_sub_f16_e32 v32, v31, v32
	v_sub_f16_e32 v34, v33, v34
	v_add_f16_e32 v8, v10, v6
	v_sub_f16_e32 v4, v7, v4
	v_sub_f16_e32 v9, v2, v9
	;; [unrolled: 1-line block ×3, first 2 shown]
	v_fma_f16 v23, v8, s5, v30
	v_sub_f16_e32 v24, v4, v9
	v_fma_f16 v5, v5, 2.0, -v29
	v_fma_f16 v2, v2, 2.0, -v9
	;; [unrolled: 1-line block ×4, first 2 shown]
	v_fma_f16 v23, v48, s5, v23
	v_fma_f16 v25, v48, s5, v24
	v_sub_f16_e32 v2, v5, v2
	v_sub_f16_e32 v3, v9, v3
	v_fma_f16 v7, v7, 2.0, -v4
	v_fma_f16 v27, v27, 2.0, -v28
	;; [unrolled: 1-line block ×5, first 2 shown]
	v_fma_f16 v25, v8, s4, v25
	v_add_f16_e32 v10, v2, v3
	v_sub_f16_e32 v27, v7, v27
	v_sub_f16_e32 v28, v1, v28
	v_fma_f16 v29, v29, 2.0, -v30
	v_fma_f16 v30, v32, 2.0, -v48
	;; [unrolled: 1-line block ×6, first 2 shown]
	v_fma_f16 v8, v6, s4, v29
	v_fma_f16 v24, v30, s4, v4
	v_fma_f16 v2, v5, 2.0, -v2
	v_fma_f16 v1, v1, 2.0, -v28
	;; [unrolled: 1-line block ×4, first 2 shown]
	v_fma_f16 v8, v30, s5, v8
	v_fma_f16 v6, v6, s4, v24
	v_sub_f16_e32 v1, v2, v1
	v_sub_f16_e32 v3, v5, v3
	s_movk_i32 s0, 0x1e00
	v_sub_f16_e32 v33, v27, v28
	v_fma_f16 v29, v29, 2.0, -v8
	v_fma_f16 v4, v4, 2.0, -v6
	;; [unrolled: 1-line block ×4, first 2 shown]
	v_and_or_b32 v7, v51, s0, v46
	v_fma_f16 v34, v27, 2.0, -v33
	v_lshlrev_b32_e32 v7, 2, v7
	v_pack_b32_f16 v2, v2, v5
	v_pack_b32_f16 v4, v29, v4
	ds_write2st64_b32 v7, v2, v4 offset1:1
	v_pack_b32_f16 v2, v31, v34
	v_pack_b32_f16 v4, v26, v35
	ds_write2st64_b32 v7, v2, v4 offset0:2 offset1:3
	v_pack_b32_f16 v1, v1, v3
	v_pack_b32_f16 v2, v8, v6
	ds_write2st64_b32 v7, v1, v2 offset0:4 offset1:5
	;; [unrolled: 3-line block ×3, first 2 shown]
.LBB0_23:
	s_or_b64 exec, exec, s[2:3]
	s_waitcnt lgkmcnt(0)
	s_barrier
	ds_read2st64_b32 v[1:2], v39 offset1:8
	ds_read2st64_b32 v[3:4], v39 offset0:32 offset1:48
	ds_read2st64_b32 v[5:6], v39 offset0:64 offset1:72
	ds_read_b32 v25, v45
	ds_read2st64_b32 v[7:8], v39 offset0:16 offset1:24
	ds_read_b32 v26, v39 offset:20480
	ds_read_b32 v27, v44
	ds_read_b32 v28, v42
	s_waitcnt lgkmcnt(4)
	v_lshrrev_b32_e32 v29, 16, v25
	v_lshrrev_b32_e32 v9, 16, v1
	;; [unrolled: 1-line block ×3, first 2 shown]
	v_mul_f16_sdwa v37, v21, v10 dst_sel:DWORD dst_unused:UNUSED_PAD src0_sel:WORD_1 src1_sel:DWORD
	v_lshrrev_b32_e32 v23, 16, v5
	v_fma_f16 v37, v21, v3, v37
	v_mul_f16_sdwa v3, v21, v3 dst_sel:DWORD dst_unused:UNUSED_PAD src0_sel:WORD_1 src1_sel:DWORD
	v_fma_f16 v3, v21, v10, -v3
	v_mul_f16_sdwa v10, v22, v23 dst_sel:DWORD dst_unused:UNUSED_PAD src0_sel:WORD_1 src1_sel:DWORD
	v_fma_f16 v10, v22, v5, v10
	v_mul_f16_sdwa v5, v22, v5 dst_sel:DWORD dst_unused:UNUSED_PAD src0_sel:WORD_1 src1_sel:DWORD
	v_fma_f16 v5, v22, v23, -v5
	v_mul_f16_sdwa v23, v21, v29 dst_sel:DWORD dst_unused:UNUSED_PAD src0_sel:WORD_1 src1_sel:DWORD
	v_lshrrev_b32_e32 v30, 16, v6
	v_fma_f16 v23, v21, v25, v23
	v_mul_f16_sdwa v25, v21, v25 dst_sel:DWORD dst_unused:UNUSED_PAD src0_sel:WORD_1 src1_sel:DWORD
	v_fma_f16 v25, v21, v29, -v25
	v_mul_f16_sdwa v29, v22, v30 dst_sel:DWORD dst_unused:UNUSED_PAD src0_sel:WORD_1 src1_sel:DWORD
	v_lshrrev_b32_e32 v32, 16, v4
	v_fma_f16 v29, v22, v6, v29
	v_mul_f16_sdwa v6, v22, v6 dst_sel:DWORD dst_unused:UNUSED_PAD src0_sel:WORD_1 src1_sel:DWORD
	v_fma_f16 v6, v22, v30, -v6
	v_mul_f16_sdwa v30, v21, v32 dst_sel:DWORD dst_unused:UNUSED_PAD src0_sel:WORD_1 src1_sel:DWORD
	s_waitcnt lgkmcnt(2)
	v_lshrrev_b32_e32 v33, 16, v26
	v_fma_f16 v30, v21, v4, v30
	v_mul_f16_sdwa v4, v21, v4 dst_sel:DWORD dst_unused:UNUSED_PAD src0_sel:WORD_1 src1_sel:DWORD
	v_fma_f16 v4, v21, v32, -v4
	v_mul_f16_sdwa v32, v22, v33 dst_sel:DWORD dst_unused:UNUSED_PAD src0_sel:WORD_1 src1_sel:DWORD
	s_waitcnt lgkmcnt(0)
	v_lshrrev_b32_e32 v35, 16, v28
	v_fma_f16 v32, v22, v26, v32
	v_mul_f16_sdwa v26, v22, v26 dst_sel:DWORD dst_unused:UNUSED_PAD src0_sel:WORD_1 src1_sel:DWORD
	v_fma_f16 v26, v22, v33, -v26
	v_mul_f16_sdwa v33, v21, v35 dst_sel:DWORD dst_unused:UNUSED_PAD src0_sel:WORD_1 src1_sel:DWORD
	v_lshrrev_b32_e32 v36, 16, v27
	v_fma_f16 v33, v21, v28, v33
	v_mul_f16_sdwa v28, v21, v28 dst_sel:DWORD dst_unused:UNUSED_PAD src0_sel:WORD_1 src1_sel:DWORD
	v_fma_f16 v21, v21, v35, -v28
	v_mul_f16_sdwa v28, v22, v36 dst_sel:DWORD dst_unused:UNUSED_PAD src0_sel:WORD_1 src1_sel:DWORD
	v_fma_f16 v28, v22, v27, v28
	v_mul_f16_sdwa v27, v22, v27 dst_sel:DWORD dst_unused:UNUSED_PAD src0_sel:WORD_1 src1_sel:DWORD
	v_add_f16_e32 v35, v37, v10
	v_fma_f16 v22, v22, v36, -v27
	v_add_f16_e32 v27, v1, v37
	v_fma_f16 v1, v35, -0.5, v1
	v_sub_f16_e32 v35, v3, v5
	s_mov_b32 s0, 0xbaee
	s_movk_i32 s1, 0x3aee
	v_fma_f16 v36, v35, s0, v1
	v_fma_f16 v1, v35, s1, v1
	v_add_f16_e32 v35, v9, v3
	v_add_f16_e32 v3, v3, v5
	;; [unrolled: 1-line block ×4, first 2 shown]
	v_fma_f16 v3, v3, -0.5, v9
	v_sub_f16_e32 v5, v37, v10
	v_add_f16_e32 v10, v23, v29
	v_lshrrev_b32_e32 v24, 16, v2
	v_fma_f16 v9, v5, s1, v3
	v_fma_f16 v3, v5, s0, v3
	v_add_f16_e32 v5, v2, v23
	v_fma_f16 v2, v10, -0.5, v2
	v_sub_f16_e32 v10, v25, v6
	v_fma_f16 v37, v10, s0, v2
	v_fma_f16 v2, v10, s1, v2
	v_add_f16_e32 v10, v24, v25
	v_add_f16_e32 v10, v10, v6
	;; [unrolled: 1-line block ×3, first 2 shown]
	v_fma_f16 v6, v6, -0.5, v24
	v_sub_f16_e32 v23, v23, v29
	v_add_f16_e32 v25, v30, v32
	v_lshrrev_b32_e32 v31, 16, v7
	v_fma_f16 v24, v23, s1, v6
	v_fma_f16 v6, v23, s0, v6
	v_add_f16_e32 v23, v7, v30
	v_fma_f16 v7, v25, -0.5, v7
	v_sub_f16_e32 v25, v4, v26
	v_add_f16_e32 v5, v5, v29
	v_fma_f16 v29, v25, s0, v7
	v_fma_f16 v7, v25, s1, v7
	v_add_f16_e32 v25, v31, v4
	v_add_f16_e32 v4, v4, v26
	;; [unrolled: 1-line block ×3, first 2 shown]
	v_fma_f16 v4, v4, -0.5, v31
	v_sub_f16_e32 v26, v30, v32
	v_add_f16_e32 v31, v33, v28
	v_lshrrev_b32_e32 v34, 16, v8
	v_add_f16_e32 v23, v23, v32
	v_fma_f16 v30, v26, s1, v4
	v_fma_f16 v4, v26, s0, v4
	v_add_f16_e32 v26, v8, v33
	v_fma_f16 v8, v31, -0.5, v8
	v_sub_f16_e32 v31, v21, v22
	v_pack_b32_f16 v1, v1, v3
	v_pack_b32_f16 v3, v5, v10
	;; [unrolled: 1-line block ×3, first 2 shown]
	v_fma_f16 v32, v31, s0, v8
	v_fma_f16 v8, v31, s1, v8
	v_add_f16_e32 v31, v34, v21
	v_add_f16_e32 v21, v21, v22
	s_barrier
	ds_write2st64_b32 v39, v1, v3 offset0:16 offset1:24
	v_pack_b32_f16 v1, v37, v24
	ds_write_b32 v45, v2
	v_pack_b32_f16 v2, v23, v25
	v_add_f16_e32 v26, v26, v28
	v_add_f16_e32 v31, v31, v22
	v_fma_f16 v21, v21, -0.5, v34
	v_sub_f16_e32 v22, v33, v28
	ds_write2st64_b32 v39, v1, v2 offset0:32 offset1:48
	v_pack_b32_f16 v1, v29, v30
	v_fma_f16 v28, v22, s1, v21
	ds_write_b32 v42, v1
	v_pack_b32_f16 v1, v7, v4
	v_pack_b32_f16 v2, v26, v31
	v_fma_f16 v21, v22, s0, v21
	ds_write2st64_b32 v39, v1, v2 offset0:64 offset1:72
	v_pack_b32_f16 v1, v32, v28
	v_pack_b32_f16 v22, v27, v35
	v_pack_b32_f16 v9, v36, v9
	ds_write_b32 v39, v1 offset:20480
	v_pack_b32_f16 v1, v8, v21
	ds_write2st64_b32 v39, v22, v9 offset1:8
	ds_write_b32 v44, v1
	s_waitcnt lgkmcnt(0)
	s_barrier
	ds_read2st64_b32 v[1:2], v39 offset1:8
	ds_read2st64_b32 v[3:4], v39 offset0:16 offset1:24
	ds_read2st64_b32 v[5:6], v39 offset0:32 offset1:48
	;; [unrolled: 1-line block ×3, first 2 shown]
	ds_read_b32 v24, v42
	ds_read_b32 v25, v39 offset:20480
	ds_read_b32 v27, v45
	ds_read_b32 v28, v44
	s_waitcnt lgkmcnt(6)
	v_lshrrev_b32_e32 v10, 16, v4
	v_mul_f16_sdwa v35, v11, v10 dst_sel:DWORD dst_unused:UNUSED_PAD src0_sel:WORD_1 src1_sel:DWORD
	s_waitcnt lgkmcnt(5)
	v_lshrrev_b32_e32 v21, 16, v6
	v_fma_f16 v35, v11, v4, v35
	v_mul_f16_sdwa v4, v11, v4 dst_sel:DWORD dst_unused:UNUSED_PAD src0_sel:WORD_1 src1_sel:DWORD
	v_fma_f16 v4, v11, v10, -v4
	v_mul_f16_sdwa v10, v12, v21 dst_sel:DWORD dst_unused:UNUSED_PAD src0_sel:WORD_1 src1_sel:DWORD
	s_waitcnt lgkmcnt(4)
	v_lshrrev_b32_e32 v22, 16, v8
	v_lshrrev_b32_e32 v26, 16, v5
	v_fma_f16 v10, v12, v6, v10
	v_mul_f16_sdwa v6, v12, v6 dst_sel:DWORD dst_unused:UNUSED_PAD src0_sel:WORD_1 src1_sel:DWORD
	v_fma_f16 v6, v12, v21, -v6
	v_mul_f16_sdwa v11, v13, v22 dst_sel:DWORD dst_unused:UNUSED_PAD src0_sel:WORD_1 src1_sel:DWORD
	v_mul_f16_sdwa v12, v14, v26 dst_sel:DWORD dst_unused:UNUSED_PAD src0_sel:WORD_1 src1_sel:DWORD
	s_waitcnt lgkmcnt(3)
	v_lshrrev_b32_e32 v29, 16, v24
	v_fma_f16 v11, v13, v8, v11
	v_mul_f16_sdwa v8, v13, v8 dst_sel:DWORD dst_unused:UNUSED_PAD src0_sel:WORD_1 src1_sel:DWORD
	v_fma_f16 v12, v14, v5, v12
	v_mul_f16_sdwa v5, v14, v5 dst_sel:DWORD dst_unused:UNUSED_PAD src0_sel:WORD_1 src1_sel:DWORD
	s_waitcnt lgkmcnt(2)
	v_lshrrev_b32_e32 v30, 16, v25
	v_fma_f16 v8, v13, v22, -v8
	v_fma_f16 v5, v14, v26, -v5
	v_mul_f16_sdwa v13, v15, v29 dst_sel:DWORD dst_unused:UNUSED_PAD src0_sel:WORD_1 src1_sel:DWORD
	v_mul_f16_sdwa v14, v15, v24 dst_sel:DWORD dst_unused:UNUSED_PAD src0_sel:WORD_1 src1_sel:DWORD
	s_waitcnt lgkmcnt(1)
	v_lshrrev_b32_e32 v32, 16, v27
	v_fma_f16 v13, v15, v24, v13
	v_fma_f16 v14, v15, v29, -v14
	v_mul_f16_sdwa v15, v16, v30 dst_sel:DWORD dst_unused:UNUSED_PAD src0_sel:WORD_1 src1_sel:DWORD
	v_mul_f16_sdwa v21, v16, v25 dst_sel:DWORD dst_unused:UNUSED_PAD src0_sel:WORD_1 src1_sel:DWORD
	v_lshrrev_b32_e32 v33, 16, v7
	v_fma_f16 v15, v16, v25, v15
	v_fma_f16 v16, v16, v30, -v21
	v_mul_f16_sdwa v21, v17, v32 dst_sel:DWORD dst_unused:UNUSED_PAD src0_sel:WORD_1 src1_sel:DWORD
	v_mul_f16_sdwa v22, v17, v27 dst_sel:DWORD dst_unused:UNUSED_PAD src0_sel:WORD_1 src1_sel:DWORD
	v_fma_f16 v21, v17, v27, v21
	v_fma_f16 v17, v17, v32, -v22
	v_mul_f16_sdwa v22, v18, v33 dst_sel:DWORD dst_unused:UNUSED_PAD src0_sel:WORD_1 src1_sel:DWORD
	v_lshrrev_b32_e32 v9, 16, v1
	v_lshrrev_b32_e32 v23, 16, v2
	s_waitcnt lgkmcnt(0)
	v_lshrrev_b32_e32 v34, 16, v28
	v_fma_f16 v22, v18, v7, v22
	v_mul_f16_sdwa v7, v18, v7 dst_sel:DWORD dst_unused:UNUSED_PAD src0_sel:WORD_1 src1_sel:DWORD
	v_fma_f16 v7, v18, v33, -v7
	v_mul_f16_sdwa v18, v19, v34 dst_sel:DWORD dst_unused:UNUSED_PAD src0_sel:WORD_1 src1_sel:DWORD
	v_mul_f16_sdwa v24, v19, v28 dst_sel:DWORD dst_unused:UNUSED_PAD src0_sel:WORD_1 src1_sel:DWORD
	v_sub_f16_e32 v10, v1, v10
	v_sub_f16_e32 v6, v9, v6
	;; [unrolled: 1-line block ×8, first 2 shown]
	v_fma_f16 v18, v19, v28, v18
	v_fma_f16 v19, v19, v34, -v24
	v_fma_f16 v1, v1, 2.0, -v10
	v_fma_f16 v9, v9, 2.0, -v6
	;; [unrolled: 1-line block ×8, first 2 shown]
	v_sub_f16_e32 v24, v1, v24
	v_sub_f16_e32 v4, v9, v4
	;; [unrolled: 1-line block ×4, first 2 shown]
	v_lshrrev_b32_e32 v31, 16, v3
	v_fma_f16 v1, v1, 2.0, -v24
	v_fma_f16 v9, v9, 2.0, -v4
	;; [unrolled: 1-line block ×4, first 2 shown]
	v_add_f16_e32 v16, v13, v16
	v_sub_f16_e32 v15, v14, v15
	v_fma_f16 v13, v13, 2.0, -v16
	v_fma_f16 v14, v14, 2.0, -v15
	v_sub_f16_e32 v22, v3, v22
	v_sub_f16_e32 v7, v31, v7
	;; [unrolled: 1-line block ×4, first 2 shown]
	v_pack_b32_f16 v1, v1, v9
	v_pack_b32_f16 v2, v2, v23
	v_fma_f16 v3, v3, 2.0, -v22
	v_fma_f16 v25, v31, 2.0, -v7
	;; [unrolled: 1-line block ×4, first 2 shown]
	v_pack_b32_f16 v4, v24, v4
	ds_write2st64_b32 v39, v1, v2 offset1:8
	v_pack_b32_f16 v1, v13, v14
	v_add_f16_e32 v8, v10, v8
	v_sub_f16_e32 v11, v6, v11
	v_sub_f16_e32 v21, v3, v21
	;; [unrolled: 1-line block ×3, first 2 shown]
	ds_write2st64_b32 v39, v1, v4 offset0:32 offset1:48
	v_pack_b32_f16 v1, v12, v5
	v_fma_f16 v10, v10, 2.0, -v8
	v_fma_f16 v6, v6, 2.0, -v11
	;; [unrolled: 1-line block ×4, first 2 shown]
	v_add_f16_e32 v19, v22, v19
	v_sub_f16_e32 v18, v7, v18
	ds_write_b32 v42, v1
	v_pack_b32_f16 v1, v16, v15
	v_fma_f16 v22, v22, 2.0, -v19
	v_fma_f16 v7, v7, 2.0, -v18
	v_pack_b32_f16 v6, v10, v6
	ds_write_b32 v39, v1 offset:20480
	v_pack_b32_f16 v1, v3, v25
	ds_write2st64_b32 v39, v1, v6 offset0:16 offset1:24
	v_pack_b32_f16 v1, v22, v7
	v_pack_b32_f16 v8, v8, v11
	ds_write_b32 v45, v1
	v_pack_b32_f16 v1, v21, v17
	ds_write2st64_b32 v39, v1, v8 offset0:64 offset1:72
	v_pack_b32_f16 v1, v19, v18
	ds_write_b32 v44, v1
	s_waitcnt lgkmcnt(0)
	s_barrier
	s_and_b64 exec, exec, vcc
	s_cbranch_execz .LBB0_25
; %bb.24:
	global_load_dword v12, v39, s[12:13]
	global_load_dword v11, v39, s[12:13] offset:1536
	ds_read2st64_b32 v[1:2], v39 offset1:6
	v_mad_u64_u32 v[3:4], s[0:1], s10, v20, 0
	v_mad_u64_u32 v[5:6], s[0:1], s8, v0, 0
	v_mov_b32_e32 v7, 0x7c00
	s_mov_b32 s6, 0x55555555
	v_mad_u64_u32 v[14:15], s[0:1], s11, v20, v[4:5]
	s_waitcnt lgkmcnt(0)
	v_lshrrev_b32_e32 v4, 16, v1
	s_mov_b32 s7, 0x3f255555
	v_mov_b32_e32 v9, s13
	s_movk_i32 s18, 0x1ff
	v_add_co_u32_e32 v8, vcc, s12, v39
	v_addc_co_u32_e32 v9, vcc, 0, v9, vcc
	global_load_dword v13, v39, s[12:13] offset:3072
	global_load_dword v10, v43, s[12:13]
	s_movk_i32 s17, 0xffe
	s_movk_i32 s16, 0x40f
	s_mov_b32 s10, 0x8000
	s_movk_i32 s19, 0x1000
	s_waitcnt vmcnt(3)
	v_mul_f16_sdwa v15, v4, v12 dst_sel:DWORD dst_unused:UNUSED_PAD src0_sel:DWORD src1_sel:WORD_1
	v_fma_f16 v15, v1, v12, v15
	v_mul_f16_sdwa v1, v1, v12 dst_sel:DWORD dst_unused:UNUSED_PAD src0_sel:DWORD src1_sel:WORD_1
	v_cvt_f32_f16_e32 v15, v15
	v_fma_f16 v1, v12, v4, -v1
	v_cvt_f32_f16_e32 v4, v1
	v_mad_u64_u32 v[0:1], s[0:1], s9, v0, v[6:7]
	v_cvt_f64_f32_e32 v[15:16], v15
	v_cvt_f64_f32_e32 v[17:18], v4
	v_mov_b32_e32 v6, v0
	v_lshrrev_b32_e32 v12, 16, v2
	v_mul_f64 v[15:16], v[15:16], s[6:7]
	v_mul_f64 v[0:1], v[17:18], s[6:7]
	v_mov_b32_e32 v4, v14
	s_waitcnt vmcnt(2)
	v_mul_f16_sdwa v14, v12, v11 dst_sel:DWORD dst_unused:UNUSED_PAD src0_sel:DWORD src1_sel:WORD_1
	v_fma_f16 v14, v2, v11, v14
	v_cvt_f32_f16_e32 v14, v14
	v_lshlrev_b64 v[3:4], 2, v[3:4]
	v_mul_f16_sdwa v2, v2, v11 dst_sel:DWORD dst_unused:UNUSED_PAD src0_sel:DWORD src1_sel:WORD_1
	v_and_or_b32 v15, v16, s18, v15
	v_and_or_b32 v0, v1, s18, v0
	v_cmp_ne_u32_e32 vcc, 0, v15
	v_lshrrev_b32_e32 v17, 8, v16
	v_bfe_u32 v18, v16, 20, 11
	v_cndmask_b32_e64 v15, 0, 1, vcc
	v_cmp_ne_u32_e32 vcc, 0, v0
	v_lshrrev_b32_e32 v19, 8, v1
	v_bfe_u32 v20, v1, 20, 11
	v_sub_u32_e32 v21, 0x3f1, v18
	v_cndmask_b32_e64 v0, 0, 1, vcc
	v_and_or_b32 v15, v17, s17, v15
	v_sub_u32_e32 v22, 0x3f1, v20
	v_med3_i32 v17, v21, 0, 13
	v_and_or_b32 v0, v19, s17, v0
	v_or_b32_e32 v21, 0x1000, v15
	v_add_u32_e32 v18, 0xfffffc10, v18
	v_med3_i32 v19, v22, 0, 13
	v_cmp_ne_u32_e32 vcc, 0, v15
	v_or_b32_e32 v23, 0x1000, v0
	v_lshrrev_b32_e32 v25, v17, v21
	v_add_u32_e32 v20, 0xfffffc10, v20
	v_lshl_or_b32 v22, v18, 12, v15
	v_cndmask_b32_e64 v15, 0, 1, vcc
	v_cmp_ne_u32_e32 vcc, 0, v0
	v_lshrrev_b32_e32 v26, v19, v23
	v_lshlrev_b32_e32 v17, v17, v25
	v_lshl_or_b32 v24, v20, 12, v0
	v_cndmask_b32_e64 v0, 0, 1, vcc
	v_lshlrev_b32_e32 v19, v19, v26
	v_cmp_ne_u32_e32 vcc, v17, v21
	v_cndmask_b32_e64 v17, 0, 1, vcc
	v_cmp_ne_u32_e32 vcc, v19, v23
	v_cndmask_b32_e64 v19, 0, 1, vcc
	v_or_b32_e32 v17, v25, v17
	v_cmp_gt_i32_e32 vcc, 1, v18
	v_cndmask_b32_e32 v17, v22, v17, vcc
	v_or_b32_e32 v19, v26, v19
	v_cmp_gt_i32_e32 vcc, 1, v20
	v_and_b32_e32 v21, 7, v17
	v_cndmask_b32_e32 v19, v24, v19, vcc
	v_cmp_lt_i32_e32 vcc, 5, v21
	v_cmp_eq_u32_e64 s[0:1], 3, v21
	v_lshrrev_b32_e32 v17, 2, v17
	v_and_b32_e32 v22, 7, v19
	s_or_b64 vcc, s[0:1], vcc
	v_cmp_lt_i32_e64 s[2:3], 5, v22
	v_cmp_eq_u32_e64 s[4:5], 3, v22
	v_addc_co_u32_e32 v17, vcc, 0, v17, vcc
	v_lshrrev_b32_e32 v19, 2, v19
	s_or_b64 vcc, s[4:5], s[2:3]
	v_addc_co_u32_e32 v19, vcc, 0, v19, vcc
	v_cmp_gt_i32_e32 vcc, 31, v18
	v_cndmask_b32_e32 v17, v7, v17, vcc
	v_cmp_gt_i32_e32 vcc, 31, v20
	v_lshl_or_b32 v15, v15, 9, v7
	v_cndmask_b32_e32 v19, v7, v19, vcc
	v_cmp_eq_u32_e32 vcc, s16, v18
	v_lshl_or_b32 v0, v0, 9, v7
	v_cndmask_b32_e32 v15, v17, v15, vcc
	v_cmp_eq_u32_e32 vcc, s16, v20
	v_lshrrev_b32_e32 v16, 16, v16
	v_lshrrev_b32_e32 v1, 16, v1
	v_cndmask_b32_e32 v0, v19, v0, vcc
	v_and_or_b32 v15, v16, s10, v15
	v_and_or_b32 v16, v1, s10, v0
	v_cvt_f64_f32_e32 v[0:1], v14
	v_and_b32_e32 v15, 0xffff, v15
	v_lshl_or_b32 v14, v16, 16, v15
	v_mov_b32_e32 v15, s15
	v_mul_f64 v[0:1], v[0:1], s[6:7]
	v_add_co_u32_e32 v16, vcc, s14, v3
	v_addc_co_u32_e32 v15, vcc, v15, v4, vcc
	v_lshlrev_b64 v[3:4], 2, v[5:6]
	v_fma_f16 v2, v11, v12, -v2
	v_add_co_u32_e32 v3, vcc, v16, v3
	v_addc_co_u32_e32 v4, vcc, v15, v4, vcc
	v_and_or_b32 v0, v1, s18, v0
	v_cmp_ne_u32_e32 vcc, 0, v0
	v_cndmask_b32_e64 v0, 0, 1, vcc
	v_lshrrev_b32_e32 v5, 8, v1
	v_bfe_u32 v6, v1, 20, 11
	global_store_dword v[3:4], v14, off
	v_and_or_b32 v0, v5, s17, v0
	v_sub_u32_e32 v14, 0x3f1, v6
	v_or_b32_e32 v5, 0x1000, v0
	v_med3_i32 v14, v14, 0, 13
	v_lshrrev_b32_e32 v15, v14, v5
	v_lshlrev_b32_e32 v14, v14, v15
	v_cmp_ne_u32_e32 vcc, v14, v5
	v_cndmask_b32_e64 v5, 0, 1, vcc
	v_add_u32_e32 v14, 0xfffffc10, v6
	v_cvt_f32_f16_e32 v2, v2
	v_or_b32_e32 v5, v15, v5
	v_lshl_or_b32 v6, v14, 12, v0
	v_cmp_gt_i32_e32 vcc, 1, v14
	v_cndmask_b32_e32 v5, v6, v5, vcc
	v_and_b32_e32 v6, 7, v5
	v_cmp_lt_i32_e32 vcc, 5, v6
	v_cmp_eq_u32_e64 s[0:1], 3, v6
	v_lshrrev_b32_e32 v11, 2, v5
	v_cvt_f64_f32_e32 v[5:6], v2
	s_or_b64 vcc, s[0:1], vcc
	v_addc_co_u32_e32 v2, vcc, 0, v11, vcc
	v_mul_f64 v[5:6], v[5:6], s[6:7]
	v_cmp_gt_i32_e32 vcc, 31, v14
	v_cndmask_b32_e32 v2, v7, v2, vcc
	v_cmp_ne_u32_e32 vcc, 0, v0
	v_cndmask_b32_e64 v0, 0, 1, vcc
	v_lshl_or_b32 v0, v0, 9, v7
	v_cmp_eq_u32_e32 vcc, s16, v14
	v_cndmask_b32_e32 v0, v2, v0, vcc
	v_lshrrev_b32_e32 v1, 16, v1
	v_and_or_b32 v0, v1, s10, v0
	v_and_or_b32 v1, v6, s18, v5
	v_cmp_ne_u32_e32 vcc, 0, v1
	v_cndmask_b32_e64 v1, 0, 1, vcc
	v_lshrrev_b32_e32 v2, 8, v6
	v_bfe_u32 v5, v6, 20, 11
	v_and_or_b32 v1, v2, s17, v1
	v_sub_u32_e32 v11, 0x3f1, v5
	v_or_b32_e32 v2, 0x1000, v1
	v_med3_i32 v11, v11, 0, 13
	v_lshrrev_b32_e32 v12, v11, v2
	v_lshlrev_b32_e32 v11, v11, v12
	v_cmp_ne_u32_e32 vcc, v11, v2
	v_cndmask_b32_e64 v2, 0, 1, vcc
	v_add_u32_e32 v5, 0xfffffc10, v5
	v_or_b32_e32 v2, v12, v2
	v_lshl_or_b32 v11, v5, 12, v1
	v_cmp_gt_i32_e32 vcc, 1, v5
	v_cndmask_b32_e32 v2, v11, v2, vcc
	v_and_b32_e32 v11, 7, v2
	v_cmp_lt_i32_e32 vcc, 5, v11
	v_cmp_eq_u32_e64 s[0:1], 3, v11
	v_lshrrev_b32_e32 v2, 2, v2
	s_or_b64 vcc, s[0:1], vcc
	v_addc_co_u32_e32 v2, vcc, 0, v2, vcc
	v_cmp_gt_i32_e32 vcc, 31, v5
	v_cndmask_b32_e32 v11, v7, v2, vcc
	v_cmp_ne_u32_e32 vcc, 0, v1
	ds_read2st64_b32 v[1:2], v39 offset0:12 offset1:18
	v_cndmask_b32_e64 v12, 0, 1, vcc
	v_lshl_or_b32 v12, v12, 9, v7
	v_cmp_eq_u32_e32 vcc, s16, v5
	v_cndmask_b32_e32 v5, v11, v12, vcc
	s_waitcnt lgkmcnt(0)
	v_lshrrev_b32_e32 v14, 16, v1
	s_waitcnt vmcnt(2)
	v_mul_f16_sdwa v11, v14, v13 dst_sel:DWORD dst_unused:UNUSED_PAD src0_sel:DWORD src1_sel:WORD_1
	v_fma_f16 v11, v1, v13, v11
	v_cvt_f32_f16_e32 v11, v11
	v_lshrrev_b32_e32 v6, 16, v6
	v_and_or_b32 v5, v6, s10, v5
	v_and_b32_e32 v0, 0xffff, v0
	v_lshl_or_b32 v0, v5, 16, v0
	v_cvt_f64_f32_e32 v[5:6], v11
	s_mul_i32 s0, s9, 0x600
	s_mul_hi_u32 s2, s8, 0x600
	s_add_i32 s2, s2, s0
	v_mul_f64 v[11:12], v[5:6], s[6:7]
	s_mul_i32 s3, s8, 0x600
	v_mov_b32_e32 v5, s2
	v_add_co_u32_e32 v3, vcc, s3, v3
	v_addc_co_u32_e32 v4, vcc, v4, v5, vcc
	global_store_dword v[3:4], v0, off
	v_and_or_b32 v0, v12, s18, v11
	v_cmp_ne_u32_e32 vcc, 0, v0
	v_cndmask_b32_e64 v0, 0, 1, vcc
	v_add_co_u32_e32 v22, vcc, s19, v8
	v_addc_co_u32_e32 v23, vcc, 0, v9, vcc
	global_load_dword v16, v[22:23], off offset:512
	v_lshrrev_b32_e32 v5, 8, v12
	v_and_or_b32 v11, v5, s17, v0
	v_bfe_u32 v5, v12, 20, 11
	v_sub_u32_e32 v6, 0x3f1, v5
	v_or_b32_e32 v0, 0x1000, v11
	v_med3_i32 v6, v6, 0, 13
	v_lshrrev_b32_e32 v15, v6, v0
	v_lshlrev_b32_e32 v6, v6, v15
	v_cmp_ne_u32_e32 vcc, v6, v0
	v_mul_f16_sdwa v1, v1, v13 dst_sel:DWORD dst_unused:UNUSED_PAD src0_sel:DWORD src1_sel:WORD_1
	v_cndmask_b32_e64 v0, 0, 1, vcc
	v_fma_f16 v1, v13, v14, -v1
	v_or_b32_e32 v0, v15, v0
	v_add_u32_e32 v15, 0xfffffc10, v5
	v_cvt_f32_f16_e32 v1, v1
	v_lshl_or_b32 v5, v15, 12, v11
	v_cmp_gt_i32_e32 vcc, 1, v15
	v_cndmask_b32_e32 v0, v5, v0, vcc
	v_and_b32_e32 v5, 7, v0
	v_cmp_lt_i32_e32 vcc, 5, v5
	v_cmp_eq_u32_e64 s[0:1], 3, v5
	v_lshrrev_b32_e32 v5, 2, v0
	v_cvt_f64_f32_e32 v[0:1], v1
	s_or_b64 vcc, s[0:1], vcc
	v_addc_co_u32_e32 v5, vcc, 0, v5, vcc
	v_cmp_gt_i32_e32 vcc, 31, v15
	v_cndmask_b32_e32 v13, v7, v5, vcc
	v_mul_f64 v[5:6], v[0:1], s[6:7]
	v_cmp_ne_u32_e32 vcc, 0, v11
	v_cndmask_b32_e64 v0, 0, 1, vcc
	v_lshl_or_b32 v0, v0, 9, v7
	v_cmp_eq_u32_e32 vcc, s16, v15
	v_cndmask_b32_e32 v0, v13, v0, vcc
	v_lshrrev_b32_e32 v1, 16, v12
	v_and_or_b32 v17, v1, s10, v0
	v_and_or_b32 v0, v6, s18, v5
	v_cmp_ne_u32_e32 vcc, 0, v0
	v_cndmask_b32_e64 v0, 0, 1, vcc
	v_lshrrev_b32_e32 v1, 8, v6
	v_bfe_u32 v5, v6, 20, 11
	v_and_or_b32 v0, v1, s17, v0
	v_sub_u32_e32 v11, 0x3f1, v5
	v_or_b32_e32 v1, 0x1000, v0
	v_med3_i32 v11, v11, 0, 13
	v_lshrrev_b32_e32 v12, v11, v1
	v_lshlrev_b32_e32 v11, v11, v12
	v_cmp_ne_u32_e32 vcc, v11, v1
	v_cndmask_b32_e64 v1, 0, 1, vcc
	v_add_u32_e32 v19, 0xfffffc10, v5
	v_or_b32_e32 v1, v12, v1
	v_lshl_or_b32 v5, v19, 12, v0
	v_cmp_gt_i32_e32 vcc, 1, v19
	v_cndmask_b32_e32 v1, v5, v1, vcc
	v_and_b32_e32 v5, 7, v1
	v_cmp_lt_i32_e32 vcc, 5, v5
	v_cmp_eq_u32_e64 s[0:1], 3, v5
	v_lshrrev_b32_e32 v1, 2, v1
	s_or_b64 vcc, s[0:1], vcc
	v_addc_co_u32_e32 v1, vcc, 0, v1, vcc
	v_cmp_gt_i32_e32 vcc, 31, v19
	v_cndmask_b32_e32 v20, v7, v1, vcc
	v_cmp_ne_u32_e32 vcc, 0, v0
	s_movk_i32 s0, 0x2000
	v_cndmask_b32_e64 v21, 0, 1, vcc
	v_add_co_u32_e32 v0, vcc, s0, v8
	v_addc_co_u32_e32 v1, vcc, 0, v9, vcc
	s_movk_i32 s0, 0x3000
	v_add_co_u32_e32 v24, vcc, s0, v8
	v_addc_co_u32_e32 v25, vcc, 0, v9, vcc
	s_movk_i32 s0, 0x4000
	global_load_dword v15, v[22:23], off offset:3584
	global_load_dword v14, v[0:1], off offset:1024
	global_load_dword v13, v[0:1], off offset:2560
	global_load_dword v5, v[24:25], off offset:1536
	global_load_dword v12, v[24:25], off offset:3072
	v_add_co_u32_e32 v0, vcc, s0, v8
	v_addc_co_u32_e32 v1, vcc, 0, v9, vcc
	global_load_dword v22, v41, s[12:13]
	global_load_dword v11, v[0:1], off offset:512
	v_lshrrev_b32_e32 v18, 16, v2
	s_waitcnt vmcnt(7)
	v_mul_f16_sdwa v23, v18, v16 dst_sel:DWORD dst_unused:UNUSED_PAD src0_sel:DWORD src1_sel:WORD_1
	v_fma_f16 v23, v2, v16, v23
	v_cvt_f32_f16_e32 v23, v23
	v_lshl_or_b32 v21, v21, 9, v7
	v_cmp_eq_u32_e32 vcc, s16, v19
	v_cndmask_b32_e32 v21, v20, v21, vcc
	v_cvt_f64_f32_e32 v[19:20], v23
	v_lshrrev_b32_e32 v6, 16, v6
	v_and_or_b32 v6, v6, s10, v21
	v_and_b32_e32 v17, 0xffff, v17
	v_mul_f64 v[19:20], v[19:20], s[6:7]
	v_lshl_or_b32 v6, v6, 16, v17
	v_mov_b32_e32 v17, s2
	v_add_co_u32_e32 v3, vcc, s3, v3
	v_addc_co_u32_e32 v4, vcc, v4, v17, vcc
	global_store_dword v[3:4], v6, off
	v_and_or_b32 v6, v20, s18, v19
	v_cmp_ne_u32_e32 vcc, 0, v6
	v_cndmask_b32_e64 v6, 0, 1, vcc
	v_lshrrev_b32_e32 v17, 8, v20
	v_bfe_u32 v19, v20, 20, 11
	v_and_or_b32 v6, v17, s17, v6
	v_sub_u32_e32 v21, 0x3f1, v19
	v_or_b32_e32 v17, 0x1000, v6
	v_med3_i32 v21, v21, 0, 13
	v_lshrrev_b32_e32 v23, v21, v17
	v_mul_f16_sdwa v2, v2, v16 dst_sel:DWORD dst_unused:UNUSED_PAD src0_sel:DWORD src1_sel:WORD_1
	v_lshlrev_b32_e32 v21, v21, v23
	v_fma_f16 v2, v16, v18, -v2
	v_cmp_ne_u32_e32 vcc, v21, v17
	v_cvt_f32_f16_e32 v2, v2
	v_cndmask_b32_e64 v17, 0, 1, vcc
	v_add_u32_e32 v19, 0xfffffc10, v19
	v_or_b32_e32 v17, v23, v17
	v_lshl_or_b32 v21, v19, 12, v6
	v_cmp_gt_i32_e32 vcc, 1, v19
	v_cndmask_b32_e32 v17, v21, v17, vcc
	v_and_b32_e32 v21, 7, v17
	v_lshrrev_b32_e32 v18, 2, v17
	v_cvt_f64_f32_e32 v[16:17], v2
	v_cmp_lt_i32_e32 vcc, 5, v21
	v_cmp_eq_u32_e64 s[0:1], 3, v21
	s_or_b64 vcc, s[0:1], vcc
	v_mul_f64 v[16:17], v[16:17], s[6:7]
	v_addc_co_u32_e32 v2, vcc, 0, v18, vcc
	v_cmp_gt_i32_e32 vcc, 31, v19
	v_cndmask_b32_e32 v2, v7, v2, vcc
	v_cmp_ne_u32_e32 vcc, 0, v6
	v_cndmask_b32_e64 v6, 0, 1, vcc
	v_lshl_or_b32 v6, v6, 9, v7
	v_cmp_eq_u32_e32 vcc, s16, v19
	v_cndmask_b32_e32 v2, v2, v6, vcc
	v_lshrrev_b32_e32 v6, 16, v20
	v_and_or_b32 v2, v6, s10, v2
	v_and_or_b32 v6, v17, s18, v16
	v_cmp_ne_u32_e32 vcc, 0, v6
	v_cndmask_b32_e64 v6, 0, 1, vcc
	v_lshrrev_b32_e32 v16, 8, v17
	v_bfe_u32 v18, v17, 20, 11
	v_and_or_b32 v6, v16, s17, v6
	v_sub_u32_e32 v19, 0x3f1, v18
	v_or_b32_e32 v16, 0x1000, v6
	v_med3_i32 v19, v19, 0, 13
	v_lshrrev_b32_e32 v20, v19, v16
	v_lshlrev_b32_e32 v19, v19, v20
	v_cmp_ne_u32_e32 vcc, v19, v16
	v_cndmask_b32_e64 v16, 0, 1, vcc
	v_or_b32_e32 v16, v20, v16
	v_add_u32_e32 v20, 0xfffffc10, v18
	v_lshl_or_b32 v18, v20, 12, v6
	v_cmp_gt_i32_e32 vcc, 1, v20
	v_cndmask_b32_e32 v16, v18, v16, vcc
	v_and_b32_e32 v18, 7, v16
	v_cmp_lt_i32_e32 vcc, 5, v18
	v_cmp_eq_u32_e64 s[0:1], 3, v18
	ds_read2st64_b32 v[18:19], v39 offset0:24 offset1:30
	v_lshrrev_b32_e32 v16, 2, v16
	s_or_b64 vcc, s[0:1], vcc
	v_addc_co_u32_e32 v16, vcc, 0, v16, vcc
	s_waitcnt lgkmcnt(0)
	v_lshrrev_b32_e32 v23, 16, v18
	s_waitcnt vmcnt(2)
	v_mul_f16_sdwa v21, v23, v22 dst_sel:DWORD dst_unused:UNUSED_PAD src0_sel:DWORD src1_sel:WORD_1
	v_fma_f16 v21, v18, v22, v21
	v_cvt_f32_f16_e32 v21, v21
	v_cmp_gt_i32_e32 vcc, 31, v20
	v_cndmask_b32_e32 v16, v7, v16, vcc
	v_cmp_ne_u32_e32 vcc, 0, v6
	v_cndmask_b32_e64 v6, 0, 1, vcc
	v_cmp_eq_u32_e32 vcc, s16, v20
	v_cvt_f64_f32_e32 v[20:21], v21
	v_lshl_or_b32 v6, v6, 9, v7
	v_cndmask_b32_e32 v6, v16, v6, vcc
	v_lshrrev_b32_e32 v16, 16, v17
	v_and_or_b32 v6, v16, s10, v6
	v_mul_f64 v[16:17], v[20:21], s[6:7]
	v_and_b32_e32 v2, 0xffff, v2
	v_lshl_or_b32 v6, v6, 16, v2
	v_mov_b32_e32 v20, s2
	v_add_co_u32_e32 v2, vcc, s3, v3
	v_addc_co_u32_e32 v3, vcc, v4, v20, vcc
	v_and_or_b32 v4, v17, s18, v16
	v_cmp_ne_u32_e32 vcc, 0, v4
	global_store_dword v[2:3], v6, off
	v_cndmask_b32_e64 v4, 0, 1, vcc
	v_lshrrev_b32_e32 v6, 8, v17
	v_bfe_u32 v16, v17, 20, 11
	v_and_or_b32 v4, v6, s17, v4
	v_sub_u32_e32 v20, 0x3f1, v16
	v_or_b32_e32 v6, 0x1000, v4
	v_med3_i32 v20, v20, 0, 13
	v_lshrrev_b32_e32 v21, v20, v6
	v_lshlrev_b32_e32 v20, v20, v21
	v_mul_f16_sdwa v18, v18, v22 dst_sel:DWORD dst_unused:UNUSED_PAD src0_sel:DWORD src1_sel:WORD_1
	v_cmp_ne_u32_e32 vcc, v20, v6
	v_fma_f16 v18, v22, v23, -v18
	v_cndmask_b32_e64 v6, 0, 1, vcc
	v_add_u32_e32 v16, 0xfffffc10, v16
	v_cvt_f32_f16_e32 v18, v18
	v_or_b32_e32 v6, v21, v6
	v_lshl_or_b32 v20, v16, 12, v4
	v_cmp_gt_i32_e32 vcc, 1, v16
	v_cndmask_b32_e32 v6, v20, v6, vcc
	v_and_b32_e32 v20, 7, v6
	v_cmp_lt_i32_e32 vcc, 5, v20
	v_cmp_eq_u32_e64 s[0:1], 3, v20
	v_cvt_f64_f32_e32 v[20:21], v18
	v_lshrrev_b32_e32 v6, 2, v6
	s_or_b64 vcc, s[0:1], vcc
	v_addc_co_u32_e32 v6, vcc, 0, v6, vcc
	v_mul_f64 v[20:21], v[20:21], s[6:7]
	v_cmp_gt_i32_e32 vcc, 31, v16
	v_cndmask_b32_e32 v6, v7, v6, vcc
	v_cmp_ne_u32_e32 vcc, 0, v4
	v_cndmask_b32_e64 v4, 0, 1, vcc
	v_lshl_or_b32 v4, v4, 9, v7
	v_cmp_eq_u32_e32 vcc, s16, v16
	v_cndmask_b32_e32 v4, v6, v4, vcc
	v_lshrrev_b32_e32 v6, 16, v17
	v_and_or_b32 v4, v6, s10, v4
	v_and_or_b32 v6, v21, s18, v20
	v_cmp_ne_u32_e32 vcc, 0, v6
	v_cndmask_b32_e64 v6, 0, 1, vcc
	v_lshrrev_b32_e32 v16, 8, v21
	v_bfe_u32 v17, v21, 20, 11
	v_and_or_b32 v6, v16, s17, v6
	v_sub_u32_e32 v18, 0x3f1, v17
	v_or_b32_e32 v16, 0x1000, v6
	v_med3_i32 v18, v18, 0, 13
	v_lshrrev_b32_e32 v20, v18, v16
	v_lshlrev_b32_e32 v18, v18, v20
	v_cmp_ne_u32_e32 vcc, v18, v16
	v_cndmask_b32_e64 v16, 0, 1, vcc
	v_add_u32_e32 v17, 0xfffffc10, v17
	v_or_b32_e32 v16, v20, v16
	v_lshl_or_b32 v18, v17, 12, v6
	v_cmp_gt_i32_e32 vcc, 1, v17
	v_cndmask_b32_e32 v16, v18, v16, vcc
	v_and_b32_e32 v18, 7, v16
	v_cmp_lt_i32_e32 vcc, 5, v18
	v_cmp_eq_u32_e64 s[0:1], 3, v18
	v_lshrrev_b32_e32 v18, 16, v19
	v_lshrrev_b32_e32 v16, 2, v16
	s_or_b64 vcc, s[0:1], vcc
	v_mul_f16_sdwa v20, v18, v15 dst_sel:DWORD dst_unused:UNUSED_PAD src0_sel:DWORD src1_sel:WORD_1
	v_addc_co_u32_e32 v16, vcc, 0, v16, vcc
	v_fma_f16 v20, v19, v15, v20
	v_cmp_gt_i32_e32 vcc, 31, v17
	v_cvt_f32_f16_e32 v20, v20
	v_cndmask_b32_e32 v16, v7, v16, vcc
	v_cmp_ne_u32_e32 vcc, 0, v6
	v_cndmask_b32_e64 v6, 0, 1, vcc
	v_lshl_or_b32 v6, v6, 9, v7
	v_cmp_eq_u32_e32 vcc, s16, v17
	v_cndmask_b32_e32 v6, v16, v6, vcc
	v_cvt_f64_f32_e32 v[16:17], v20
	v_lshrrev_b32_e32 v20, 16, v21
	v_and_or_b32 v6, v20, s10, v6
	v_and_b32_e32 v4, 0xffff, v4
	v_mul_f64 v[16:17], v[16:17], s[6:7]
	v_lshl_or_b32 v4, v6, 16, v4
	v_mov_b32_e32 v6, s2
	v_add_co_u32_e32 v2, vcc, s3, v2
	v_addc_co_u32_e32 v3, vcc, v3, v6, vcc
	global_store_dword v[2:3], v4, off
	v_and_or_b32 v4, v17, s18, v16
	v_cmp_ne_u32_e32 vcc, 0, v4
	v_cndmask_b32_e64 v4, 0, 1, vcc
	v_lshrrev_b32_e32 v6, 8, v17
	v_bfe_u32 v16, v17, 20, 11
	v_and_or_b32 v4, v6, s17, v4
	v_sub_u32_e32 v20, 0x3f1, v16
	v_or_b32_e32 v6, 0x1000, v4
	v_med3_i32 v20, v20, 0, 13
	v_lshrrev_b32_e32 v21, v20, v6
	v_lshlrev_b32_e32 v20, v20, v21
	v_mul_f16_sdwa v19, v19, v15 dst_sel:DWORD dst_unused:UNUSED_PAD src0_sel:DWORD src1_sel:WORD_1
	v_cmp_ne_u32_e32 vcc, v20, v6
	v_fma_f16 v15, v15, v18, -v19
	v_cndmask_b32_e64 v6, 0, 1, vcc
	v_add_u32_e32 v20, 0xfffffc10, v16
	v_cvt_f32_f16_e32 v15, v15
	v_or_b32_e32 v6, v21, v6
	v_lshl_or_b32 v16, v20, 12, v4
	v_cmp_gt_i32_e32 vcc, 1, v20
	v_cndmask_b32_e32 v6, v16, v6, vcc
	v_and_b32_e32 v16, 7, v6
	v_cmp_lt_i32_e32 vcc, 5, v16
	v_cmp_eq_u32_e64 s[0:1], 3, v16
	v_cvt_f64_f32_e32 v[15:16], v15
	v_lshrrev_b32_e32 v6, 2, v6
	s_or_b64 vcc, s[0:1], vcc
	v_addc_co_u32_e32 v6, vcc, 0, v6, vcc
	v_mul_f64 v[15:16], v[15:16], s[6:7]
	v_cmp_gt_i32_e32 vcc, 31, v20
	v_cndmask_b32_e32 v6, v7, v6, vcc
	v_cmp_ne_u32_e32 vcc, 0, v4
	v_cndmask_b32_e64 v4, 0, 1, vcc
	v_lshl_or_b32 v4, v4, 9, v7
	v_cmp_eq_u32_e32 vcc, s16, v20
	v_cndmask_b32_e32 v4, v6, v4, vcc
	v_lshrrev_b32_e32 v6, 16, v17
	v_and_or_b32 v4, v6, s10, v4
	v_and_or_b32 v6, v16, s18, v15
	v_cmp_ne_u32_e32 vcc, 0, v6
	v_cndmask_b32_e64 v6, 0, 1, vcc
	v_lshrrev_b32_e32 v15, 8, v16
	v_bfe_u32 v17, v16, 20, 11
	v_and_or_b32 v6, v15, s17, v6
	v_sub_u32_e32 v18, 0x3f1, v17
	v_or_b32_e32 v15, 0x1000, v6
	v_med3_i32 v18, v18, 0, 13
	v_lshrrev_b32_e32 v19, v18, v15
	v_lshlrev_b32_e32 v18, v18, v19
	v_cmp_ne_u32_e32 vcc, v18, v15
	v_cndmask_b32_e64 v15, 0, 1, vcc
	v_or_b32_e32 v15, v19, v15
	v_add_u32_e32 v19, 0xfffffc10, v17
	v_lshl_or_b32 v17, v19, 12, v6
	v_cmp_gt_i32_e32 vcc, 1, v19
	v_cndmask_b32_e32 v15, v17, v15, vcc
	v_and_b32_e32 v17, 7, v15
	v_cmp_lt_i32_e32 vcc, 5, v17
	v_cmp_eq_u32_e64 s[0:1], 3, v17
	ds_read2st64_b32 v[17:18], v39 offset0:36 offset1:42
	v_lshrrev_b32_e32 v15, 2, v15
	s_or_b64 vcc, s[0:1], vcc
	v_addc_co_u32_e32 v15, vcc, 0, v15, vcc
	s_waitcnt lgkmcnt(0)
	v_lshrrev_b32_e32 v21, 16, v17
	v_mul_f16_sdwa v20, v21, v14 dst_sel:DWORD dst_unused:UNUSED_PAD src0_sel:DWORD src1_sel:WORD_1
	v_fma_f16 v20, v17, v14, v20
	v_cvt_f32_f16_e32 v20, v20
	v_cmp_gt_i32_e32 vcc, 31, v19
	v_cndmask_b32_e32 v15, v7, v15, vcc
	v_cmp_ne_u32_e32 vcc, 0, v6
	v_cndmask_b32_e64 v6, 0, 1, vcc
	v_cmp_eq_u32_e32 vcc, s16, v19
	v_cvt_f64_f32_e32 v[19:20], v20
	v_lshl_or_b32 v6, v6, 9, v7
	v_cndmask_b32_e32 v6, v15, v6, vcc
	v_lshrrev_b32_e32 v15, 16, v16
	v_and_or_b32 v6, v15, s10, v6
	v_mul_f64 v[15:16], v[19:20], s[6:7]
	v_and_b32_e32 v4, 0xffff, v4
	v_lshl_or_b32 v4, v6, 16, v4
	v_mov_b32_e32 v6, s2
	v_add_co_u32_e32 v2, vcc, s3, v2
	v_addc_co_u32_e32 v3, vcc, v3, v6, vcc
	global_store_dword v[2:3], v4, off
	v_and_or_b32 v4, v16, s18, v15
	v_cmp_ne_u32_e32 vcc, 0, v4
	v_cndmask_b32_e64 v4, 0, 1, vcc
	v_lshrrev_b32_e32 v6, 8, v16
	v_bfe_u32 v15, v16, 20, 11
	v_and_or_b32 v4, v6, s17, v4
	v_sub_u32_e32 v19, 0x3f1, v15
	v_or_b32_e32 v6, 0x1000, v4
	v_med3_i32 v19, v19, 0, 13
	v_lshrrev_b32_e32 v20, v19, v6
	v_lshlrev_b32_e32 v19, v19, v20
	v_mul_f16_sdwa v17, v17, v14 dst_sel:DWORD dst_unused:UNUSED_PAD src0_sel:DWORD src1_sel:WORD_1
	v_cmp_ne_u32_e32 vcc, v19, v6
	v_fma_f16 v14, v14, v21, -v17
	v_cndmask_b32_e64 v6, 0, 1, vcc
	v_add_u32_e32 v19, 0xfffffc10, v15
	v_cvt_f32_f16_e32 v14, v14
	v_or_b32_e32 v6, v20, v6
	v_lshl_or_b32 v15, v19, 12, v4
	v_cmp_gt_i32_e32 vcc, 1, v19
	v_cndmask_b32_e32 v6, v15, v6, vcc
	v_and_b32_e32 v15, 7, v6
	v_cmp_lt_i32_e32 vcc, 5, v15
	v_cmp_eq_u32_e64 s[0:1], 3, v15
	v_cvt_f64_f32_e32 v[14:15], v14
	v_lshrrev_b32_e32 v6, 2, v6
	s_or_b64 vcc, s[0:1], vcc
	v_addc_co_u32_e32 v6, vcc, 0, v6, vcc
	v_mul_f64 v[14:15], v[14:15], s[6:7]
	v_cmp_gt_i32_e32 vcc, 31, v19
	v_cndmask_b32_e32 v6, v7, v6, vcc
	v_cmp_ne_u32_e32 vcc, 0, v4
	v_cndmask_b32_e64 v4, 0, 1, vcc
	v_lshl_or_b32 v4, v4, 9, v7
	v_cmp_eq_u32_e32 vcc, s16, v19
	v_cndmask_b32_e32 v4, v6, v4, vcc
	v_lshrrev_b32_e32 v6, 16, v16
	v_and_or_b32 v4, v6, s10, v4
	v_and_or_b32 v6, v15, s18, v14
	v_cmp_ne_u32_e32 vcc, 0, v6
	v_cndmask_b32_e64 v6, 0, 1, vcc
	v_lshrrev_b32_e32 v14, 8, v15
	v_bfe_u32 v16, v15, 20, 11
	v_and_or_b32 v6, v14, s17, v6
	v_sub_u32_e32 v17, 0x3f1, v16
	v_or_b32_e32 v14, 0x1000, v6
	v_med3_i32 v17, v17, 0, 13
	v_lshrrev_b32_e32 v19, v17, v14
	v_lshlrev_b32_e32 v17, v17, v19
	v_cmp_ne_u32_e32 vcc, v17, v14
	v_cndmask_b32_e64 v14, 0, 1, vcc
	v_add_u32_e32 v16, 0xfffffc10, v16
	v_or_b32_e32 v14, v19, v14
	v_lshl_or_b32 v17, v16, 12, v6
	v_cmp_gt_i32_e32 vcc, 1, v16
	v_cndmask_b32_e32 v14, v17, v14, vcc
	v_and_b32_e32 v17, 7, v14
	v_lshrrev_b32_e32 v19, 16, v18
	v_cmp_lt_i32_e32 vcc, 5, v17
	v_cmp_eq_u32_e64 s[0:1], 3, v17
	v_mul_f16_sdwa v17, v19, v13 dst_sel:DWORD dst_unused:UNUSED_PAD src0_sel:DWORD src1_sel:WORD_1
	v_fma_f16 v17, v18, v13, v17
	v_lshrrev_b32_e32 v14, 2, v14
	s_or_b64 vcc, s[0:1], vcc
	v_cvt_f32_f16_e32 v17, v17
	v_addc_co_u32_e32 v14, vcc, 0, v14, vcc
	v_cmp_gt_i32_e32 vcc, 31, v16
	v_cndmask_b32_e32 v14, v7, v14, vcc
	v_cmp_ne_u32_e32 vcc, 0, v6
	v_cndmask_b32_e64 v6, 0, 1, vcc
	v_cmp_eq_u32_e32 vcc, s16, v16
	v_cvt_f64_f32_e32 v[16:17], v17
	v_lshl_or_b32 v6, v6, 9, v7
	v_cndmask_b32_e32 v6, v14, v6, vcc
	v_lshrrev_b32_e32 v14, 16, v15
	v_and_or_b32 v6, v14, s10, v6
	v_mul_f64 v[14:15], v[16:17], s[6:7]
	v_and_b32_e32 v4, 0xffff, v4
	v_lshl_or_b32 v4, v6, 16, v4
	v_mov_b32_e32 v6, s2
	v_add_co_u32_e32 v2, vcc, s3, v2
	v_addc_co_u32_e32 v3, vcc, v3, v6, vcc
	global_store_dword v[2:3], v4, off
	v_and_or_b32 v4, v15, s18, v14
	v_cmp_ne_u32_e32 vcc, 0, v4
	v_cndmask_b32_e64 v4, 0, 1, vcc
	v_lshrrev_b32_e32 v6, 8, v15
	v_bfe_u32 v14, v15, 20, 11
	v_and_or_b32 v4, v6, s17, v4
	v_sub_u32_e32 v16, 0x3f1, v14
	v_or_b32_e32 v6, 0x1000, v4
	v_med3_i32 v16, v16, 0, 13
	v_lshrrev_b32_e32 v17, v16, v6
	v_lshlrev_b32_e32 v16, v16, v17
	v_cmp_ne_u32_e32 vcc, v16, v6
	v_cndmask_b32_e64 v6, 0, 1, vcc
	v_or_b32_e32 v6, v17, v6
	v_mul_f16_sdwa v17, v18, v13 dst_sel:DWORD dst_unused:UNUSED_PAD src0_sel:DWORD src1_sel:WORD_1
	v_fma_f16 v13, v13, v19, -v17
	v_add_u32_e32 v16, 0xfffffc10, v14
	v_cvt_f32_f16_e32 v13, v13
	v_lshl_or_b32 v14, v16, 12, v4
	v_cmp_gt_i32_e32 vcc, 1, v16
	v_cndmask_b32_e32 v6, v14, v6, vcc
	v_and_b32_e32 v14, 7, v6
	v_cmp_lt_i32_e32 vcc, 5, v14
	v_cmp_eq_u32_e64 s[0:1], 3, v14
	v_cvt_f64_f32_e32 v[13:14], v13
	v_lshrrev_b32_e32 v6, 2, v6
	s_or_b64 vcc, s[0:1], vcc
	v_addc_co_u32_e32 v6, vcc, 0, v6, vcc
	v_mul_f64 v[13:14], v[13:14], s[6:7]
	v_cmp_gt_i32_e32 vcc, 31, v16
	v_cndmask_b32_e32 v6, v7, v6, vcc
	v_cmp_ne_u32_e32 vcc, 0, v4
	v_cndmask_b32_e64 v4, 0, 1, vcc
	v_lshl_or_b32 v4, v4, 9, v7
	v_cmp_eq_u32_e32 vcc, s16, v16
	v_cndmask_b32_e32 v4, v6, v4, vcc
	v_lshrrev_b32_e32 v6, 16, v15
	v_and_or_b32 v4, v6, s10, v4
	v_and_or_b32 v6, v14, s18, v13
	v_cmp_ne_u32_e32 vcc, 0, v6
	v_cndmask_b32_e64 v6, 0, 1, vcc
	v_lshrrev_b32_e32 v13, 8, v14
	v_bfe_u32 v15, v14, 20, 11
	v_and_or_b32 v6, v13, s17, v6
	v_sub_u32_e32 v16, 0x3f1, v15
	v_or_b32_e32 v13, 0x1000, v6
	v_med3_i32 v16, v16, 0, 13
	v_lshrrev_b32_e32 v17, v16, v13
	v_lshlrev_b32_e32 v16, v16, v17
	v_cmp_ne_u32_e32 vcc, v16, v13
	v_cndmask_b32_e64 v13, 0, 1, vcc
	v_or_b32_e32 v13, v17, v13
	v_add_u32_e32 v17, 0xfffffc10, v15
	v_lshl_or_b32 v15, v17, 12, v6
	v_cmp_gt_i32_e32 vcc, 1, v17
	v_cndmask_b32_e32 v13, v15, v13, vcc
	v_and_b32_e32 v15, 7, v13
	v_cmp_lt_i32_e32 vcc, 5, v15
	v_cmp_eq_u32_e64 s[0:1], 3, v15
	ds_read2st64_b32 v[15:16], v39 offset0:48 offset1:54
	v_lshrrev_b32_e32 v13, 2, v13
	s_or_b64 vcc, s[0:1], vcc
	v_addc_co_u32_e32 v13, vcc, 0, v13, vcc
	s_waitcnt lgkmcnt(0)
	v_lshrrev_b32_e32 v19, 16, v15
	v_mul_f16_sdwa v18, v19, v10 dst_sel:DWORD dst_unused:UNUSED_PAD src0_sel:DWORD src1_sel:WORD_1
	v_fma_f16 v18, v15, v10, v18
	v_cvt_f32_f16_e32 v18, v18
	v_cmp_gt_i32_e32 vcc, 31, v17
	v_cndmask_b32_e32 v13, v7, v13, vcc
	v_cmp_ne_u32_e32 vcc, 0, v6
	v_cndmask_b32_e64 v6, 0, 1, vcc
	v_cmp_eq_u32_e32 vcc, s16, v17
	v_cvt_f64_f32_e32 v[17:18], v18
	v_lshl_or_b32 v6, v6, 9, v7
	v_cndmask_b32_e32 v6, v13, v6, vcc
	v_lshrrev_b32_e32 v13, 16, v14
	v_and_or_b32 v6, v13, s10, v6
	v_mul_f64 v[13:14], v[17:18], s[6:7]
	v_and_b32_e32 v4, 0xffff, v4
	v_lshl_or_b32 v4, v6, 16, v4
	v_mov_b32_e32 v6, s2
	v_add_co_u32_e32 v2, vcc, s3, v2
	v_addc_co_u32_e32 v3, vcc, v3, v6, vcc
	global_store_dword v[2:3], v4, off
	v_and_or_b32 v4, v14, s18, v13
	v_cmp_ne_u32_e32 vcc, 0, v4
	v_cndmask_b32_e64 v4, 0, 1, vcc
	v_lshrrev_b32_e32 v6, 8, v14
	v_bfe_u32 v13, v14, 20, 11
	v_and_or_b32 v4, v6, s17, v4
	v_sub_u32_e32 v17, 0x3f1, v13
	v_or_b32_e32 v6, 0x1000, v4
	v_med3_i32 v17, v17, 0, 13
	v_lshrrev_b32_e32 v18, v17, v6
	v_lshlrev_b32_e32 v17, v17, v18
	v_mul_f16_sdwa v15, v15, v10 dst_sel:DWORD dst_unused:UNUSED_PAD src0_sel:DWORD src1_sel:WORD_1
	v_cmp_ne_u32_e32 vcc, v17, v6
	v_fma_f16 v10, v10, v19, -v15
	v_cndmask_b32_e64 v6, 0, 1, vcc
	v_add_u32_e32 v13, 0xfffffc10, v13
	v_cvt_f32_f16_e32 v10, v10
	v_or_b32_e32 v6, v18, v6
	v_lshl_or_b32 v17, v13, 12, v4
	v_cmp_gt_i32_e32 vcc, 1, v13
	v_cndmask_b32_e32 v6, v17, v6, vcc
	v_and_b32_e32 v17, 7, v6
	v_cmp_lt_i32_e32 vcc, 5, v17
	v_cmp_eq_u32_e64 s[0:1], 3, v17
	v_cvt_f64_f32_e32 v[17:18], v10
	v_lshrrev_b32_e32 v6, 2, v6
	s_or_b64 vcc, s[0:1], vcc
	v_addc_co_u32_e32 v6, vcc, 0, v6, vcc
	v_mul_f64 v[17:18], v[17:18], s[6:7]
	v_cmp_gt_i32_e32 vcc, 31, v13
	v_cndmask_b32_e32 v6, v7, v6, vcc
	v_cmp_ne_u32_e32 vcc, 0, v4
	v_cndmask_b32_e64 v4, 0, 1, vcc
	v_lshl_or_b32 v4, v4, 9, v7
	v_cmp_eq_u32_e32 vcc, s16, v13
	v_cndmask_b32_e32 v4, v6, v4, vcc
	v_lshrrev_b32_e32 v6, 16, v14
	v_and_or_b32 v4, v6, s10, v4
	v_and_or_b32 v6, v18, s18, v17
	v_cmp_ne_u32_e32 vcc, 0, v6
	v_cndmask_b32_e64 v6, 0, 1, vcc
	v_lshrrev_b32_e32 v10, 8, v18
	v_bfe_u32 v13, v18, 20, 11
	v_and_or_b32 v6, v10, s17, v6
	v_sub_u32_e32 v14, 0x3f1, v13
	v_or_b32_e32 v10, 0x1000, v6
	v_med3_i32 v14, v14, 0, 13
	v_lshrrev_b32_e32 v15, v14, v10
	v_lshlrev_b32_e32 v14, v14, v15
	v_cmp_ne_u32_e32 vcc, v14, v10
	v_cndmask_b32_e64 v10, 0, 1, vcc
	v_add_u32_e32 v13, 0xfffffc10, v13
	v_or_b32_e32 v10, v15, v10
	v_lshl_or_b32 v14, v13, 12, v6
	v_cmp_gt_i32_e32 vcc, 1, v13
	v_cndmask_b32_e32 v10, v14, v10, vcc
	v_and_b32_e32 v14, 7, v10
	v_lshrrev_b32_e32 v15, 16, v16
	v_cmp_lt_i32_e32 vcc, 5, v14
	v_cmp_eq_u32_e64 s[0:1], 3, v14
	v_mul_f16_sdwa v14, v15, v5 dst_sel:DWORD dst_unused:UNUSED_PAD src0_sel:DWORD src1_sel:WORD_1
	v_fma_f16 v14, v16, v5, v14
	v_lshrrev_b32_e32 v10, 2, v10
	s_or_b64 vcc, s[0:1], vcc
	v_cvt_f32_f16_e32 v14, v14
	v_addc_co_u32_e32 v10, vcc, 0, v10, vcc
	v_cmp_gt_i32_e32 vcc, 31, v13
	v_cndmask_b32_e32 v10, v7, v10, vcc
	v_cmp_ne_u32_e32 vcc, 0, v6
	v_cndmask_b32_e64 v6, 0, 1, vcc
	v_cmp_eq_u32_e32 vcc, s16, v13
	v_cvt_f64_f32_e32 v[13:14], v14
	v_lshl_or_b32 v6, v6, 9, v7
	v_cndmask_b32_e32 v6, v10, v6, vcc
	v_lshrrev_b32_e32 v10, 16, v18
	v_mul_f64 v[13:14], v[13:14], s[6:7]
	v_and_or_b32 v6, v10, s10, v6
	v_and_b32_e32 v4, 0xffff, v4
	v_lshl_or_b32 v4, v6, 16, v4
	v_mov_b32_e32 v6, s2
	v_add_co_u32_e32 v2, vcc, s3, v2
	v_addc_co_u32_e32 v3, vcc, v3, v6, vcc
	global_store_dword v[2:3], v4, off
	v_and_or_b32 v4, v14, s18, v13
	v_cmp_ne_u32_e32 vcc, 0, v4
	v_cndmask_b32_e64 v4, 0, 1, vcc
	v_lshrrev_b32_e32 v6, 8, v14
	v_bfe_u32 v10, v14, 20, 11
	v_and_or_b32 v6, v6, s17, v4
	v_sub_u32_e32 v13, 0x3f1, v10
	v_or_b32_e32 v4, 0x1000, v6
	v_med3_i32 v13, v13, 0, 13
	v_lshrrev_b32_e32 v17, v13, v4
	v_lshlrev_b32_e32 v13, v13, v17
	v_mul_f16_sdwa v16, v16, v5 dst_sel:DWORD dst_unused:UNUSED_PAD src0_sel:DWORD src1_sel:WORD_1
	v_cmp_ne_u32_e32 vcc, v13, v4
	v_fma_f16 v5, v5, v15, -v16
	v_cndmask_b32_e64 v4, 0, 1, vcc
	v_add_u32_e32 v10, 0xfffffc10, v10
	v_cvt_f32_f16_e32 v5, v5
	v_or_b32_e32 v4, v17, v4
	v_lshl_or_b32 v13, v10, 12, v6
	v_cmp_gt_i32_e32 vcc, 1, v10
	v_cndmask_b32_e32 v4, v13, v4, vcc
	v_and_b32_e32 v13, 7, v4
	v_cmp_lt_i32_e32 vcc, 5, v13
	v_cmp_eq_u32_e64 s[0:1], 3, v13
	v_lshrrev_b32_e32 v13, 2, v4
	v_cvt_f64_f32_e32 v[4:5], v5
	s_or_b64 vcc, s[0:1], vcc
	v_addc_co_u32_e32 v13, vcc, 0, v13, vcc
	v_mul_f64 v[4:5], v[4:5], s[6:7]
	v_cmp_gt_i32_e32 vcc, 31, v10
	v_cndmask_b32_e32 v13, v7, v13, vcc
	v_cmp_ne_u32_e32 vcc, 0, v6
	v_cndmask_b32_e64 v6, 0, 1, vcc
	v_lshl_or_b32 v6, v6, 9, v7
	v_cmp_eq_u32_e32 vcc, s16, v10
	v_cndmask_b32_e32 v6, v13, v6, vcc
	v_and_or_b32 v4, v5, s18, v4
	v_lshrrev_b32_e32 v10, 16, v14
	v_cmp_ne_u32_e32 vcc, 0, v4
	v_and_or_b32 v6, v10, s10, v6
	v_cndmask_b32_e64 v4, 0, 1, vcc
	v_lshrrev_b32_e32 v10, 8, v5
	v_bfe_u32 v13, v5, 20, 11
	v_and_or_b32 v4, v10, s17, v4
	v_sub_u32_e32 v14, 0x3f1, v13
	v_or_b32_e32 v10, 0x1000, v4
	v_med3_i32 v14, v14, 0, 13
	v_lshrrev_b32_e32 v15, v14, v10
	v_lshlrev_b32_e32 v14, v14, v15
	v_cmp_ne_u32_e32 vcc, v14, v10
	v_cndmask_b32_e64 v10, 0, 1, vcc
	v_or_b32_e32 v10, v15, v10
	v_add_u32_e32 v15, 0xfffffc10, v13
	v_lshl_or_b32 v13, v15, 12, v4
	v_cmp_gt_i32_e32 vcc, 1, v15
	v_cndmask_b32_e32 v10, v13, v10, vcc
	v_and_b32_e32 v13, 7, v10
	v_cmp_lt_i32_e32 vcc, 5, v13
	v_cmp_eq_u32_e64 s[0:1], 3, v13
	ds_read2st64_b32 v[13:14], v39 offset0:60 offset1:66
	v_lshrrev_b32_e32 v10, 2, v10
	s_or_b64 vcc, s[0:1], vcc
	v_addc_co_u32_e32 v10, vcc, 0, v10, vcc
	s_waitcnt lgkmcnt(0)
	v_lshrrev_b32_e32 v17, 16, v13
	v_mul_f16_sdwa v16, v17, v12 dst_sel:DWORD dst_unused:UNUSED_PAD src0_sel:DWORD src1_sel:WORD_1
	v_fma_f16 v16, v13, v12, v16
	v_cvt_f32_f16_e32 v16, v16
	v_cmp_gt_i32_e32 vcc, 31, v15
	v_cndmask_b32_e32 v10, v7, v10, vcc
	v_cmp_ne_u32_e32 vcc, 0, v4
	v_cndmask_b32_e64 v4, 0, 1, vcc
	v_cmp_eq_u32_e32 vcc, s16, v15
	v_cvt_f64_f32_e32 v[15:16], v16
	v_lshl_or_b32 v4, v4, 9, v7
	v_cndmask_b32_e32 v4, v10, v4, vcc
	v_lshrrev_b32_e32 v5, 16, v5
	v_and_or_b32 v10, v5, s10, v4
	v_mul_f64 v[4:5], v[15:16], s[6:7]
	v_and_b32_e32 v6, 0xffff, v6
	v_lshl_or_b32 v6, v10, 16, v6
	v_mov_b32_e32 v10, s2
	v_add_co_u32_e32 v2, vcc, s3, v2
	v_addc_co_u32_e32 v3, vcc, v3, v10, vcc
	v_and_or_b32 v4, v5, s18, v4
	v_cmp_ne_u32_e32 vcc, 0, v4
	global_store_dword v[2:3], v6, off
	v_cndmask_b32_e64 v4, 0, 1, vcc
	v_lshrrev_b32_e32 v6, 8, v5
	v_bfe_u32 v10, v5, 20, 11
	v_mul_f16_sdwa v13, v13, v12 dst_sel:DWORD dst_unused:UNUSED_PAD src0_sel:DWORD src1_sel:WORD_1
	v_and_or_b32 v4, v6, s17, v4
	v_sub_u32_e32 v15, 0x3f1, v10
	v_fma_f16 v12, v12, v17, -v13
	v_or_b32_e32 v6, 0x1000, v4
	v_med3_i32 v15, v15, 0, 13
	v_cvt_f32_f16_e32 v12, v12
	v_lshrrev_b32_e32 v16, v15, v6
	v_lshlrev_b32_e32 v15, v15, v16
	v_cmp_ne_u32_e32 vcc, v15, v6
	v_cndmask_b32_e64 v6, 0, 1, vcc
	v_add_u32_e32 v10, 0xfffffc10, v10
	v_cvt_f64_f32_e32 v[12:13], v12
	v_or_b32_e32 v6, v16, v6
	v_lshl_or_b32 v15, v10, 12, v4
	v_cmp_gt_i32_e32 vcc, 1, v10
	v_cndmask_b32_e32 v6, v15, v6, vcc
	v_and_b32_e32 v15, 7, v6
	v_cmp_lt_i32_e32 vcc, 5, v15
	v_cmp_eq_u32_e64 s[0:1], 3, v15
	v_mul_f64 v[12:13], v[12:13], s[6:7]
	v_lshrrev_b32_e32 v6, 2, v6
	s_or_b64 vcc, s[0:1], vcc
	v_addc_co_u32_e32 v6, vcc, 0, v6, vcc
	v_cmp_gt_i32_e32 vcc, 31, v10
	v_cndmask_b32_e32 v6, v7, v6, vcc
	v_cmp_ne_u32_e32 vcc, 0, v4
	v_cndmask_b32_e64 v4, 0, 1, vcc
	v_lshl_or_b32 v4, v4, 9, v7
	v_cmp_eq_u32_e32 vcc, s16, v10
	v_cndmask_b32_e32 v4, v6, v4, vcc
	v_lshrrev_b32_e32 v5, 16, v5
	v_and_or_b32 v6, v5, s10, v4
	v_and_or_b32 v4, v13, s18, v12
	v_cmp_ne_u32_e32 vcc, 0, v4
	v_cndmask_b32_e64 v4, 0, 1, vcc
	v_lshrrev_b32_e32 v5, 8, v13
	v_bfe_u32 v10, v13, 20, 11
	v_and_or_b32 v4, v5, s17, v4
	v_sub_u32_e32 v12, 0x3f1, v10
	v_or_b32_e32 v5, 0x1000, v4
	v_med3_i32 v12, v12, 0, 13
	v_lshrrev_b32_e32 v15, v12, v5
	v_lshlrev_b32_e32 v12, v12, v15
	v_cmp_ne_u32_e32 vcc, v12, v5
	v_cndmask_b32_e64 v5, 0, 1, vcc
	v_add_u32_e32 v10, 0xfffffc10, v10
	v_or_b32_e32 v5, v15, v5
	v_lshl_or_b32 v12, v10, 12, v4
	v_cmp_gt_i32_e32 vcc, 1, v10
	v_cndmask_b32_e32 v5, v12, v5, vcc
	v_and_b32_e32 v12, 7, v5
	v_cmp_lt_i32_e32 vcc, 5, v12
	v_cmp_eq_u32_e64 s[0:1], 3, v12
	v_lshrrev_b32_e32 v12, 16, v14
	v_lshrrev_b32_e32 v5, 2, v5
	s_or_b64 vcc, s[0:1], vcc
	s_waitcnt vmcnt(8)
	v_mul_f16_sdwa v15, v12, v11 dst_sel:DWORD dst_unused:UNUSED_PAD src0_sel:DWORD src1_sel:WORD_1
	v_addc_co_u32_e32 v5, vcc, 0, v5, vcc
	v_fma_f16 v15, v14, v11, v15
	v_cmp_gt_i32_e32 vcc, 31, v10
	v_cvt_f32_f16_e32 v15, v15
	v_cndmask_b32_e32 v5, v7, v5, vcc
	v_cmp_ne_u32_e32 vcc, 0, v4
	v_cndmask_b32_e64 v4, 0, 1, vcc
	v_lshl_or_b32 v4, v4, 9, v7
	v_cmp_eq_u32_e32 vcc, s16, v10
	v_cndmask_b32_e32 v10, v5, v4, vcc
	v_cvt_f64_f32_e32 v[4:5], v15
	v_lshrrev_b32_e32 v13, 16, v13
	v_and_or_b32 v10, v13, s10, v10
	v_and_b32_e32 v6, 0xffff, v6
	v_mul_f64 v[4:5], v[4:5], s[6:7]
	v_lshl_or_b32 v6, v10, 16, v6
	v_mov_b32_e32 v10, s2
	v_add_co_u32_e32 v2, vcc, s3, v2
	v_addc_co_u32_e32 v3, vcc, v3, v10, vcc
	global_store_dword v[2:3], v6, off
	v_and_or_b32 v4, v5, s18, v4
	v_cmp_ne_u32_e32 vcc, 0, v4
	v_cndmask_b32_e64 v4, 0, 1, vcc
	v_lshrrev_b32_e32 v6, 8, v5
	v_bfe_u32 v10, v5, 20, 11
	v_and_or_b32 v4, v6, s17, v4
	v_sub_u32_e32 v13, 0x3f1, v10
	v_or_b32_e32 v6, 0x1000, v4
	v_med3_i32 v13, v13, 0, 13
	v_lshrrev_b32_e32 v15, v13, v6
	v_lshlrev_b32_e32 v13, v13, v15
	v_mul_f16_sdwa v14, v14, v11 dst_sel:DWORD dst_unused:UNUSED_PAD src0_sel:DWORD src1_sel:WORD_1
	v_cmp_ne_u32_e32 vcc, v13, v6
	v_fma_f16 v11, v11, v12, -v14
	v_cndmask_b32_e64 v6, 0, 1, vcc
	v_add_u32_e32 v13, 0xfffffc10, v10
	v_cvt_f32_f16_e32 v11, v11
	v_or_b32_e32 v6, v15, v6
	v_lshl_or_b32 v10, v13, 12, v4
	v_cmp_gt_i32_e32 vcc, 1, v13
	v_cndmask_b32_e32 v6, v10, v6, vcc
	v_and_b32_e32 v10, 7, v6
	v_cmp_lt_i32_e32 vcc, 5, v10
	v_cmp_eq_u32_e64 s[0:1], 3, v10
	v_cvt_f64_f32_e32 v[10:11], v11
	v_lshrrev_b32_e32 v6, 2, v6
	s_or_b64 vcc, s[0:1], vcc
	v_addc_co_u32_e32 v6, vcc, 0, v6, vcc
	v_mul_f64 v[10:11], v[10:11], s[6:7]
	v_cmp_gt_i32_e32 vcc, 31, v13
	v_cndmask_b32_e32 v6, v7, v6, vcc
	v_cmp_ne_u32_e32 vcc, 0, v4
	v_cndmask_b32_e64 v4, 0, 1, vcc
	v_lshl_or_b32 v4, v4, 9, v7
	v_cmp_eq_u32_e32 vcc, s16, v13
	v_cndmask_b32_e32 v4, v6, v4, vcc
	v_lshrrev_b32_e32 v5, 16, v5
	v_and_or_b32 v4, v5, s10, v4
	v_and_or_b32 v5, v11, s18, v10
	v_cmp_ne_u32_e32 vcc, 0, v5
	v_cndmask_b32_e64 v5, 0, 1, vcc
	v_lshrrev_b32_e32 v6, 8, v11
	v_bfe_u32 v10, v11, 20, 11
	v_and_or_b32 v5, v6, s17, v5
	v_sub_u32_e32 v12, 0x3f1, v10
	v_or_b32_e32 v6, 0x1000, v5
	v_med3_i32 v12, v12, 0, 13
	v_lshrrev_b32_e32 v13, v12, v6
	v_lshlrev_b32_e32 v12, v12, v13
	v_cmp_ne_u32_e32 vcc, v12, v6
	v_cndmask_b32_e64 v6, 0, 1, vcc
	v_add_u32_e32 v10, 0xfffffc10, v10
	v_or_b32_e32 v6, v13, v6
	v_lshl_or_b32 v12, v10, 12, v5
	v_cmp_gt_i32_e32 vcc, 1, v10
	v_cndmask_b32_e32 v6, v12, v6, vcc
	v_and_b32_e32 v12, 7, v6
	v_cmp_lt_i32_e32 vcc, 5, v12
	v_cmp_eq_u32_e64 s[0:1], 3, v12
	v_lshrrev_b32_e32 v6, 2, v6
	s_or_b64 vcc, s[0:1], vcc
	v_addc_co_u32_e32 v6, vcc, 0, v6, vcc
	v_cmp_gt_i32_e32 vcc, 31, v10
	v_cndmask_b32_e32 v6, v7, v6, vcc
	v_cmp_ne_u32_e32 vcc, 0, v5
	v_cndmask_b32_e64 v5, 0, 1, vcc
	v_lshl_or_b32 v5, v5, 9, v7
	v_cmp_eq_u32_e32 vcc, s16, v10
	v_cndmask_b32_e32 v5, v6, v5, vcc
	v_lshrrev_b32_e32 v6, 16, v11
	v_and_or_b32 v5, v6, s10, v5
	v_and_b32_e32 v4, 0xffff, v4
	v_lshl_or_b32 v4, v5, 16, v4
	v_mov_b32_e32 v5, s2
	v_add_co_u32_e32 v2, vcc, s3, v2
	v_addc_co_u32_e32 v3, vcc, v3, v5, vcc
	global_store_dword v[2:3], v4, off
	global_load_dword v6, v40, s[12:13]
	ds_read2st64_b32 v[4:5], v39 offset0:72 offset1:78
	s_waitcnt lgkmcnt(0)
	v_lshrrev_b32_e32 v12, 16, v4
	s_waitcnt vmcnt(0)
	v_mul_f16_sdwa v10, v12, v6 dst_sel:DWORD dst_unused:UNUSED_PAD src0_sel:DWORD src1_sel:WORD_1
	v_fma_f16 v10, v4, v6, v10
	v_cvt_f32_f16_e32 v10, v10
	v_mul_f16_sdwa v4, v4, v6 dst_sel:DWORD dst_unused:UNUSED_PAD src0_sel:DWORD src1_sel:WORD_1
	v_fma_f16 v4, v6, v12, -v4
	v_cvt_f32_f16_e32 v4, v4
	v_cvt_f64_f32_e32 v[10:11], v10
	v_mul_f64 v[10:11], v[10:11], s[6:7]
	v_and_or_b32 v10, v11, s18, v10
	v_cmp_ne_u32_e32 vcc, 0, v10
	v_cndmask_b32_e64 v10, 0, 1, vcc
	v_lshrrev_b32_e32 v13, 8, v11
	v_bfe_u32 v14, v11, 20, 11
	v_and_or_b32 v10, v13, s17, v10
	v_sub_u32_e32 v15, 0x3f1, v14
	v_or_b32_e32 v13, 0x1000, v10
	v_med3_i32 v15, v15, 0, 13
	v_lshrrev_b32_e32 v16, v15, v13
	v_lshlrev_b32_e32 v15, v15, v16
	v_cmp_ne_u32_e32 vcc, v15, v13
	v_cndmask_b32_e64 v13, 0, 1, vcc
	v_add_u32_e32 v14, 0xfffffc10, v14
	v_or_b32_e32 v13, v16, v13
	v_lshl_or_b32 v15, v14, 12, v10
	v_cmp_gt_i32_e32 vcc, 1, v14
	v_cndmask_b32_e32 v13, v15, v13, vcc
	v_and_b32_e32 v15, 7, v13
	v_lshrrev_b32_e32 v6, 2, v13
	v_cvt_f64_f32_e32 v[12:13], v4
	v_cmp_lt_i32_e32 vcc, 5, v15
	v_cmp_eq_u32_e64 s[0:1], 3, v15
	s_or_b64 vcc, s[0:1], vcc
	v_mul_f64 v[12:13], v[12:13], s[6:7]
	v_addc_co_u32_e32 v4, vcc, 0, v6, vcc
	v_cmp_gt_i32_e32 vcc, 31, v14
	v_cndmask_b32_e32 v4, v7, v4, vcc
	v_cmp_ne_u32_e32 vcc, 0, v10
	v_cndmask_b32_e64 v6, 0, 1, vcc
	v_lshl_or_b32 v6, v6, 9, v7
	v_cmp_eq_u32_e32 vcc, s16, v14
	v_cndmask_b32_e32 v4, v4, v6, vcc
	v_lshrrev_b32_e32 v6, 16, v11
	v_and_or_b32 v4, v6, s10, v4
	v_and_or_b32 v6, v13, s18, v12
	v_cmp_ne_u32_e32 vcc, 0, v6
	v_cndmask_b32_e64 v6, 0, 1, vcc
	v_lshrrev_b32_e32 v10, 8, v13
	v_bfe_u32 v11, v13, 20, 11
	v_and_or_b32 v6, v10, s17, v6
	v_sub_u32_e32 v12, 0x3f1, v11
	v_or_b32_e32 v10, 0x1000, v6
	v_med3_i32 v12, v12, 0, 13
	v_lshrrev_b32_e32 v14, v12, v10
	v_lshlrev_b32_e32 v12, v12, v14
	v_cmp_ne_u32_e32 vcc, v12, v10
	v_cndmask_b32_e64 v10, 0, 1, vcc
	v_add_u32_e32 v11, 0xfffffc10, v11
	v_or_b32_e32 v10, v14, v10
	v_lshl_or_b32 v12, v11, 12, v6
	v_cmp_gt_i32_e32 vcc, 1, v11
	v_cndmask_b32_e32 v10, v12, v10, vcc
	v_and_b32_e32 v12, 7, v10
	v_cmp_lt_i32_e32 vcc, 5, v12
	v_cmp_eq_u32_e64 s[0:1], 3, v12
	v_lshrrev_b32_e32 v10, 2, v10
	s_or_b64 vcc, s[0:1], vcc
	v_addc_co_u32_e32 v10, vcc, 0, v10, vcc
	v_cmp_gt_i32_e32 vcc, 31, v11
	v_cndmask_b32_e32 v10, v7, v10, vcc
	v_cmp_ne_u32_e32 vcc, 0, v6
	v_cndmask_b32_e64 v6, 0, 1, vcc
	v_lshl_or_b32 v6, v6, 9, v7
	v_cmp_eq_u32_e32 vcc, s16, v11
	v_cndmask_b32_e32 v6, v10, v6, vcc
	v_lshrrev_b32_e32 v10, 16, v13
	v_and_or_b32 v6, v10, s10, v6
	v_and_b32_e32 v4, 0xffff, v4
	v_lshl_or_b32 v4, v6, 16, v4
	v_mov_b32_e32 v6, s2
	v_add_co_u32_e32 v2, vcc, s3, v2
	v_addc_co_u32_e32 v3, vcc, v3, v6, vcc
	global_store_dword v[2:3], v4, off
	global_load_dword v4, v[0:1], off offset:3584
	v_lshrrev_b32_e32 v6, 16, v5
	s_waitcnt vmcnt(0)
	v_mul_f16_sdwa v0, v6, v4 dst_sel:DWORD dst_unused:UNUSED_PAD src0_sel:DWORD src1_sel:WORD_1
	v_fma_f16 v0, v5, v4, v0
	v_cvt_f32_f16_e32 v0, v0
	v_mul_f16_sdwa v5, v5, v4 dst_sel:DWORD dst_unused:UNUSED_PAD src0_sel:DWORD src1_sel:WORD_1
	v_fma_f16 v4, v4, v6, -v5
	v_cvt_f32_f16_e32 v4, v4
	v_cvt_f64_f32_e32 v[0:1], v0
	v_cvt_f64_f32_e32 v[4:5], v4
	v_mul_f64 v[0:1], v[0:1], s[6:7]
	v_mul_f64 v[4:5], v[4:5], s[6:7]
	v_and_or_b32 v0, v1, s18, v0
	v_cmp_ne_u32_e32 vcc, 0, v0
	v_cndmask_b32_e64 v0, 0, 1, vcc
	v_lshrrev_b32_e32 v10, 8, v1
	v_bfe_u32 v11, v1, 20, 11
	v_and_or_b32 v0, v10, s17, v0
	v_sub_u32_e32 v12, 0x3f1, v11
	v_or_b32_e32 v10, 0x1000, v0
	v_med3_i32 v12, v12, 0, 13
	v_lshrrev_b32_e32 v13, v12, v10
	v_lshlrev_b32_e32 v12, v12, v13
	v_cmp_ne_u32_e32 vcc, v12, v10
	v_cndmask_b32_e64 v10, 0, 1, vcc
	v_add_u32_e32 v11, 0xfffffc10, v11
	v_or_b32_e32 v10, v13, v10
	v_lshl_or_b32 v12, v11, 12, v0
	v_cmp_gt_i32_e32 vcc, 1, v11
	v_cndmask_b32_e32 v10, v12, v10, vcc
	v_and_b32_e32 v12, 7, v10
	v_cmp_lt_i32_e32 vcc, 5, v12
	v_cmp_eq_u32_e64 s[0:1], 3, v12
	v_lshrrev_b32_e32 v6, 2, v10
	s_or_b64 vcc, s[0:1], vcc
	v_addc_co_u32_e32 v6, vcc, 0, v6, vcc
	v_cmp_gt_i32_e32 vcc, 31, v11
	v_cndmask_b32_e32 v6, v7, v6, vcc
	v_cmp_ne_u32_e32 vcc, 0, v0
	v_cndmask_b32_e64 v0, 0, 1, vcc
	v_lshl_or_b32 v0, v0, 9, v7
	v_cmp_eq_u32_e32 vcc, s16, v11
	v_cndmask_b32_e32 v0, v6, v0, vcc
	v_lshrrev_b32_e32 v1, 16, v1
	v_and_or_b32 v0, v1, s10, v0
	v_and_or_b32 v1, v5, s18, v4
	v_cmp_ne_u32_e32 vcc, 0, v1
	v_cndmask_b32_e64 v1, 0, 1, vcc
	v_lshrrev_b32_e32 v4, 8, v5
	v_bfe_u32 v6, v5, 20, 11
	v_and_or_b32 v1, v4, s17, v1
	v_sub_u32_e32 v10, 0x3f1, v6
	v_or_b32_e32 v4, 0x1000, v1
	v_med3_i32 v10, v10, 0, 13
	v_lshrrev_b32_e32 v11, v10, v4
	v_lshlrev_b32_e32 v10, v10, v11
	v_cmp_ne_u32_e32 vcc, v10, v4
	v_cndmask_b32_e64 v4, 0, 1, vcc
	v_add_u32_e32 v6, 0xfffffc10, v6
	v_or_b32_e32 v4, v11, v4
	v_lshl_or_b32 v10, v6, 12, v1
	v_cmp_gt_i32_e32 vcc, 1, v6
	v_cndmask_b32_e32 v4, v10, v4, vcc
	v_and_b32_e32 v10, 7, v4
	v_cmp_lt_i32_e32 vcc, 5, v10
	v_cmp_eq_u32_e64 s[0:1], 3, v10
	v_lshrrev_b32_e32 v4, 2, v4
	s_or_b64 vcc, s[0:1], vcc
	v_addc_co_u32_e32 v4, vcc, 0, v4, vcc
	v_cmp_gt_i32_e32 vcc, 31, v6
	v_cndmask_b32_e32 v4, v7, v4, vcc
	v_cmp_ne_u32_e32 vcc, 0, v1
	v_cndmask_b32_e64 v1, 0, 1, vcc
	v_lshl_or_b32 v1, v1, 9, v7
	v_cmp_eq_u32_e32 vcc, s16, v6
	v_cndmask_b32_e32 v1, v4, v1, vcc
	v_lshrrev_b32_e32 v4, 16, v5
	v_and_or_b32 v1, v4, s10, v1
	v_and_b32_e32 v0, 0xffff, v0
	v_lshl_or_b32 v4, v1, 16, v0
	v_mov_b32_e32 v1, s2
	v_add_co_u32_e32 v0, vcc, s3, v2
	v_addc_co_u32_e32 v1, vcc, v3, v1, vcc
	s_movk_i32 s0, 0x5000
	v_add_co_u32_e32 v2, vcc, s0, v8
	global_store_dword v[0:1], v4, off
	v_addc_co_u32_e32 v3, vcc, 0, v9, vcc
	global_load_dword v6, v[2:3], off offset:1024
	ds_read2st64_b32 v[4:5], v39 offset0:84 offset1:90
	s_waitcnt lgkmcnt(0)
	v_lshrrev_b32_e32 v10, 16, v4
	s_waitcnt vmcnt(0)
	v_mul_f16_sdwa v8, v10, v6 dst_sel:DWORD dst_unused:UNUSED_PAD src0_sel:DWORD src1_sel:WORD_1
	v_fma_f16 v8, v4, v6, v8
	v_cvt_f32_f16_e32 v8, v8
	v_mul_f16_sdwa v4, v4, v6 dst_sel:DWORD dst_unused:UNUSED_PAD src0_sel:DWORD src1_sel:WORD_1
	v_fma_f16 v4, v6, v10, -v4
	v_cvt_f32_f16_e32 v4, v4
	v_cvt_f64_f32_e32 v[8:9], v8
	v_mul_f64 v[8:9], v[8:9], s[6:7]
	v_and_or_b32 v8, v9, s18, v8
	v_cmp_ne_u32_e32 vcc, 0, v8
	v_cndmask_b32_e64 v8, 0, 1, vcc
	v_lshrrev_b32_e32 v11, 8, v9
	v_bfe_u32 v12, v9, 20, 11
	v_and_or_b32 v8, v11, s17, v8
	v_sub_u32_e32 v13, 0x3f1, v12
	v_or_b32_e32 v11, 0x1000, v8
	v_med3_i32 v13, v13, 0, 13
	v_lshrrev_b32_e32 v14, v13, v11
	v_lshlrev_b32_e32 v13, v13, v14
	v_cmp_ne_u32_e32 vcc, v13, v11
	v_cndmask_b32_e64 v11, 0, 1, vcc
	v_add_u32_e32 v12, 0xfffffc10, v12
	v_or_b32_e32 v11, v14, v11
	v_lshl_or_b32 v13, v12, 12, v8
	v_cmp_gt_i32_e32 vcc, 1, v12
	v_cndmask_b32_e32 v11, v13, v11, vcc
	v_and_b32_e32 v13, 7, v11
	v_lshrrev_b32_e32 v6, 2, v11
	v_cvt_f64_f32_e32 v[10:11], v4
	v_cmp_lt_i32_e32 vcc, 5, v13
	v_cmp_eq_u32_e64 s[0:1], 3, v13
	s_or_b64 vcc, s[0:1], vcc
	v_mul_f64 v[10:11], v[10:11], s[6:7]
	v_addc_co_u32_e32 v4, vcc, 0, v6, vcc
	v_cmp_gt_i32_e32 vcc, 31, v12
	v_cndmask_b32_e32 v4, v7, v4, vcc
	v_cmp_ne_u32_e32 vcc, 0, v8
	v_cndmask_b32_e64 v6, 0, 1, vcc
	v_lshl_or_b32 v6, v6, 9, v7
	v_cmp_eq_u32_e32 vcc, s16, v12
	v_cndmask_b32_e32 v4, v4, v6, vcc
	v_lshrrev_b32_e32 v6, 16, v9
	v_and_or_b32 v4, v6, s10, v4
	v_and_or_b32 v6, v11, s18, v10
	v_cmp_ne_u32_e32 vcc, 0, v6
	v_cndmask_b32_e64 v6, 0, 1, vcc
	v_lshrrev_b32_e32 v8, 8, v11
	v_bfe_u32 v9, v11, 20, 11
	v_and_or_b32 v6, v8, s17, v6
	v_sub_u32_e32 v10, 0x3f1, v9
	v_or_b32_e32 v8, 0x1000, v6
	v_med3_i32 v10, v10, 0, 13
	v_lshrrev_b32_e32 v12, v10, v8
	v_lshlrev_b32_e32 v10, v10, v12
	v_cmp_ne_u32_e32 vcc, v10, v8
	v_cndmask_b32_e64 v8, 0, 1, vcc
	v_add_u32_e32 v9, 0xfffffc10, v9
	v_or_b32_e32 v8, v12, v8
	v_lshl_or_b32 v10, v9, 12, v6
	v_cmp_gt_i32_e32 vcc, 1, v9
	v_cndmask_b32_e32 v8, v10, v8, vcc
	v_and_b32_e32 v10, 7, v8
	v_cmp_lt_i32_e32 vcc, 5, v10
	v_cmp_eq_u32_e64 s[0:1], 3, v10
	v_lshrrev_b32_e32 v8, 2, v8
	s_or_b64 vcc, s[0:1], vcc
	v_addc_co_u32_e32 v8, vcc, 0, v8, vcc
	v_cmp_gt_i32_e32 vcc, 31, v9
	v_cndmask_b32_e32 v8, v7, v8, vcc
	v_cmp_ne_u32_e32 vcc, 0, v6
	v_cndmask_b32_e64 v6, 0, 1, vcc
	v_lshl_or_b32 v6, v6, 9, v7
	v_cmp_eq_u32_e32 vcc, s16, v9
	v_cndmask_b32_e32 v6, v8, v6, vcc
	v_lshrrev_b32_e32 v8, 16, v11
	v_and_or_b32 v6, v8, s10, v6
	v_and_b32_e32 v4, 0xffff, v4
	v_lshl_or_b32 v4, v6, 16, v4
	v_mov_b32_e32 v6, s2
	v_add_co_u32_e32 v0, vcc, s3, v0
	v_addc_co_u32_e32 v1, vcc, v1, v6, vcc
	global_store_dword v[0:1], v4, off
	global_load_dword v4, v[2:3], off offset:2560
	v_lshrrev_b32_e32 v6, 16, v5
	s_waitcnt vmcnt(0)
	v_mul_f16_sdwa v2, v6, v4 dst_sel:DWORD dst_unused:UNUSED_PAD src0_sel:DWORD src1_sel:WORD_1
	v_fma_f16 v2, v5, v4, v2
	v_cvt_f32_f16_e32 v2, v2
	v_mul_f16_sdwa v5, v5, v4 dst_sel:DWORD dst_unused:UNUSED_PAD src0_sel:DWORD src1_sel:WORD_1
	v_fma_f16 v4, v4, v6, -v5
	v_cvt_f32_f16_e32 v4, v4
	v_cvt_f64_f32_e32 v[2:3], v2
	v_cvt_f64_f32_e32 v[4:5], v4
	v_mul_f64 v[2:3], v[2:3], s[6:7]
	v_mul_f64 v[4:5], v[4:5], s[6:7]
	v_and_or_b32 v2, v3, s18, v2
	v_cmp_ne_u32_e32 vcc, 0, v2
	v_cndmask_b32_e64 v2, 0, 1, vcc
	v_lshrrev_b32_e32 v8, 8, v3
	v_bfe_u32 v9, v3, 20, 11
	v_and_or_b32 v2, v8, s17, v2
	v_sub_u32_e32 v10, 0x3f1, v9
	v_or_b32_e32 v8, 0x1000, v2
	v_med3_i32 v10, v10, 0, 13
	v_lshrrev_b32_e32 v11, v10, v8
	v_lshlrev_b32_e32 v10, v10, v11
	v_cmp_ne_u32_e32 vcc, v10, v8
	v_cndmask_b32_e64 v8, 0, 1, vcc
	v_add_u32_e32 v9, 0xfffffc10, v9
	v_or_b32_e32 v8, v11, v8
	v_lshl_or_b32 v10, v9, 12, v2
	v_cmp_gt_i32_e32 vcc, 1, v9
	v_cndmask_b32_e32 v8, v10, v8, vcc
	v_and_b32_e32 v10, 7, v8
	v_cmp_lt_i32_e32 vcc, 5, v10
	v_cmp_eq_u32_e64 s[0:1], 3, v10
	v_lshrrev_b32_e32 v6, 2, v8
	s_or_b64 vcc, s[0:1], vcc
	v_addc_co_u32_e32 v6, vcc, 0, v6, vcc
	v_cmp_gt_i32_e32 vcc, 31, v9
	v_cndmask_b32_e32 v6, v7, v6, vcc
	v_cmp_ne_u32_e32 vcc, 0, v2
	v_cndmask_b32_e64 v2, 0, 1, vcc
	v_lshl_or_b32 v2, v2, 9, v7
	v_cmp_eq_u32_e32 vcc, s16, v9
	v_cndmask_b32_e32 v2, v6, v2, vcc
	v_lshrrev_b32_e32 v3, 16, v3
	v_and_or_b32 v2, v3, s10, v2
	v_and_or_b32 v3, v5, s18, v4
	v_cmp_ne_u32_e32 vcc, 0, v3
	v_cndmask_b32_e64 v3, 0, 1, vcc
	v_lshrrev_b32_e32 v4, 8, v5
	v_bfe_u32 v6, v5, 20, 11
	v_and_or_b32 v3, v4, s17, v3
	v_sub_u32_e32 v8, 0x3f1, v6
	v_or_b32_e32 v4, 0x1000, v3
	v_med3_i32 v8, v8, 0, 13
	v_lshrrev_b32_e32 v9, v8, v4
	v_lshlrev_b32_e32 v8, v8, v9
	v_cmp_ne_u32_e32 vcc, v8, v4
	v_cndmask_b32_e64 v4, 0, 1, vcc
	v_add_u32_e32 v6, 0xfffffc10, v6
	v_or_b32_e32 v4, v9, v4
	v_lshl_or_b32 v8, v6, 12, v3
	v_cmp_gt_i32_e32 vcc, 1, v6
	v_cndmask_b32_e32 v4, v8, v4, vcc
	v_and_b32_e32 v8, 7, v4
	v_cmp_lt_i32_e32 vcc, 5, v8
	v_cmp_eq_u32_e64 s[0:1], 3, v8
	v_lshrrev_b32_e32 v4, 2, v4
	s_or_b64 vcc, s[0:1], vcc
	v_addc_co_u32_e32 v4, vcc, 0, v4, vcc
	v_cmp_gt_i32_e32 vcc, 31, v6
	v_cndmask_b32_e32 v4, v7, v4, vcc
	v_cmp_ne_u32_e32 vcc, 0, v3
	v_cndmask_b32_e64 v3, 0, 1, vcc
	v_lshl_or_b32 v3, v3, 9, v7
	v_cmp_eq_u32_e32 vcc, s16, v6
	v_cndmask_b32_e32 v3, v4, v3, vcc
	v_lshrrev_b32_e32 v4, 16, v5
	v_and_or_b32 v3, v4, s10, v3
	v_and_b32_e32 v2, 0xffff, v2
	v_lshl_or_b32 v2, v3, 16, v2
	v_mov_b32_e32 v3, s2
	v_add_co_u32_e32 v0, vcc, s3, v0
	v_addc_co_u32_e32 v1, vcc, v1, v3, vcc
	global_store_dword v[0:1], v2, off
.LBB0_25:
	s_endpgm
	.section	.rodata,"a",@progbits
	.p2align	6, 0x0
	.amdhsa_kernel bluestein_single_back_len6144_dim1_half_op_CI_CI
		.amdhsa_group_segment_fixed_size 24576
		.amdhsa_private_segment_fixed_size 0
		.amdhsa_kernarg_size 104
		.amdhsa_user_sgpr_count 6
		.amdhsa_user_sgpr_private_segment_buffer 1
		.amdhsa_user_sgpr_dispatch_ptr 0
		.amdhsa_user_sgpr_queue_ptr 0
		.amdhsa_user_sgpr_kernarg_segment_ptr 1
		.amdhsa_user_sgpr_dispatch_id 0
		.amdhsa_user_sgpr_flat_scratch_init 0
		.amdhsa_user_sgpr_private_segment_size 0
		.amdhsa_uses_dynamic_stack 0
		.amdhsa_system_sgpr_private_segment_wavefront_offset 0
		.amdhsa_system_sgpr_workgroup_id_x 1
		.amdhsa_system_sgpr_workgroup_id_y 0
		.amdhsa_system_sgpr_workgroup_id_z 0
		.amdhsa_system_sgpr_workgroup_info 0
		.amdhsa_system_vgpr_workitem_id 0
		.amdhsa_next_free_vgpr 85
		.amdhsa_next_free_sgpr 20
		.amdhsa_reserve_vcc 1
		.amdhsa_reserve_flat_scratch 0
		.amdhsa_float_round_mode_32 0
		.amdhsa_float_round_mode_16_64 0
		.amdhsa_float_denorm_mode_32 3
		.amdhsa_float_denorm_mode_16_64 3
		.amdhsa_dx10_clamp 1
		.amdhsa_ieee_mode 1
		.amdhsa_fp16_overflow 0
		.amdhsa_exception_fp_ieee_invalid_op 0
		.amdhsa_exception_fp_denorm_src 0
		.amdhsa_exception_fp_ieee_div_zero 0
		.amdhsa_exception_fp_ieee_overflow 0
		.amdhsa_exception_fp_ieee_underflow 0
		.amdhsa_exception_fp_ieee_inexact 0
		.amdhsa_exception_int_div_zero 0
	.end_amdhsa_kernel
	.text
.Lfunc_end0:
	.size	bluestein_single_back_len6144_dim1_half_op_CI_CI, .Lfunc_end0-bluestein_single_back_len6144_dim1_half_op_CI_CI
                                        ; -- End function
	.section	.AMDGPU.csdata,"",@progbits
; Kernel info:
; codeLenInByte = 22652
; NumSgprs: 24
; NumVgprs: 85
; ScratchSize: 0
; MemoryBound: 0
; FloatMode: 240
; IeeeMode: 1
; LDSByteSize: 24576 bytes/workgroup (compile time only)
; SGPRBlocks: 2
; VGPRBlocks: 21
; NumSGPRsForWavesPerEU: 24
; NumVGPRsForWavesPerEU: 85
; Occupancy: 2
; WaveLimiterHint : 1
; COMPUTE_PGM_RSRC2:SCRATCH_EN: 0
; COMPUTE_PGM_RSRC2:USER_SGPR: 6
; COMPUTE_PGM_RSRC2:TRAP_HANDLER: 0
; COMPUTE_PGM_RSRC2:TGID_X_EN: 1
; COMPUTE_PGM_RSRC2:TGID_Y_EN: 0
; COMPUTE_PGM_RSRC2:TGID_Z_EN: 0
; COMPUTE_PGM_RSRC2:TIDIG_COMP_CNT: 0
	.type	__hip_cuid_e87554d5af70b0a1,@object ; @__hip_cuid_e87554d5af70b0a1
	.section	.bss,"aw",@nobits
	.globl	__hip_cuid_e87554d5af70b0a1
__hip_cuid_e87554d5af70b0a1:
	.byte	0                               ; 0x0
	.size	__hip_cuid_e87554d5af70b0a1, 1

	.ident	"AMD clang version 19.0.0git (https://github.com/RadeonOpenCompute/llvm-project roc-6.4.0 25133 c7fe45cf4b819c5991fe208aaa96edf142730f1d)"
	.section	".note.GNU-stack","",@progbits
	.addrsig
	.addrsig_sym __hip_cuid_e87554d5af70b0a1
	.amdgpu_metadata
---
amdhsa.kernels:
  - .args:
      - .actual_access:  read_only
        .address_space:  global
        .offset:         0
        .size:           8
        .value_kind:     global_buffer
      - .actual_access:  read_only
        .address_space:  global
        .offset:         8
        .size:           8
        .value_kind:     global_buffer
      - .actual_access:  read_only
        .address_space:  global
        .offset:         16
        .size:           8
        .value_kind:     global_buffer
      - .actual_access:  read_only
        .address_space:  global
        .offset:         24
        .size:           8
        .value_kind:     global_buffer
      - .actual_access:  read_only
        .address_space:  global
        .offset:         32
        .size:           8
        .value_kind:     global_buffer
      - .offset:         40
        .size:           8
        .value_kind:     by_value
      - .address_space:  global
        .offset:         48
        .size:           8
        .value_kind:     global_buffer
      - .address_space:  global
        .offset:         56
        .size:           8
        .value_kind:     global_buffer
      - .address_space:  global
        .offset:         64
        .size:           8
        .value_kind:     global_buffer
      - .address_space:  global
        .offset:         72
        .size:           8
        .value_kind:     global_buffer
      - .offset:         80
        .size:           4
        .value_kind:     by_value
      - .address_space:  global
        .offset:         88
        .size:           8
        .value_kind:     global_buffer
      - .address_space:  global
        .offset:         96
        .size:           8
        .value_kind:     global_buffer
    .group_segment_fixed_size: 24576
    .kernarg_segment_align: 8
    .kernarg_segment_size: 104
    .language:       OpenCL C
    .language_version:
      - 2
      - 0
    .max_flat_workgroup_size: 512
    .name:           bluestein_single_back_len6144_dim1_half_op_CI_CI
    .private_segment_fixed_size: 0
    .sgpr_count:     24
    .sgpr_spill_count: 0
    .symbol:         bluestein_single_back_len6144_dim1_half_op_CI_CI.kd
    .uniform_work_group_size: 1
    .uses_dynamic_stack: false
    .vgpr_count:     85
    .vgpr_spill_count: 0
    .wavefront_size: 64
amdhsa.target:   amdgcn-amd-amdhsa--gfx906
amdhsa.version:
  - 1
  - 2
...

	.end_amdgpu_metadata
